;; amdgpu-corpus repo=ROCm/rocFFT kind=compiled arch=gfx906 opt=O3
	.text
	.amdgcn_target "amdgcn-amd-amdhsa--gfx906"
	.amdhsa_code_object_version 6
	.protected	fft_rtc_fwd_len1890_factors_2_3_3_3_7_5_wgs_126_tpt_126_halfLds_half_op_CI_CI_unitstride_sbrr_dirReg ; -- Begin function fft_rtc_fwd_len1890_factors_2_3_3_3_7_5_wgs_126_tpt_126_halfLds_half_op_CI_CI_unitstride_sbrr_dirReg
	.globl	fft_rtc_fwd_len1890_factors_2_3_3_3_7_5_wgs_126_tpt_126_halfLds_half_op_CI_CI_unitstride_sbrr_dirReg
	.p2align	8
	.type	fft_rtc_fwd_len1890_factors_2_3_3_3_7_5_wgs_126_tpt_126_halfLds_half_op_CI_CI_unitstride_sbrr_dirReg,@function
fft_rtc_fwd_len1890_factors_2_3_3_3_7_5_wgs_126_tpt_126_halfLds_half_op_CI_CI_unitstride_sbrr_dirReg: ; @fft_rtc_fwd_len1890_factors_2_3_3_3_7_5_wgs_126_tpt_126_halfLds_half_op_CI_CI_unitstride_sbrr_dirReg
; %bb.0:
	s_load_dwordx4 s[8:11], s[4:5], 0x58
	s_load_dwordx4 s[12:15], s[4:5], 0x0
	;; [unrolled: 1-line block ×3, first 2 shown]
	v_mul_u32_u24_e32 v1, 0x209, v0
	v_mov_b32_e32 v7, 0
	v_mov_b32_e32 v5, 0
	s_waitcnt lgkmcnt(0)
	v_cmp_lt_u64_e64 s[0:1], s[14:15], 2
	v_add_u32_sdwa v9, s6, v1 dst_sel:DWORD dst_unused:UNUSED_PAD src0_sel:DWORD src1_sel:WORD_1
	v_mov_b32_e32 v10, v7
	s_and_b64 vcc, exec, s[0:1]
	v_mov_b32_e32 v6, 0
	s_cbranch_vccnz .LBB0_8
; %bb.1:
	s_load_dwordx2 s[0:1], s[4:5], 0x10
	s_add_u32 s2, s18, 8
	s_addc_u32 s3, s19, 0
	s_add_u32 s6, s16, 8
	s_addc_u32 s7, s17, 0
	v_mov_b32_e32 v5, 0
	s_waitcnt lgkmcnt(0)
	s_add_u32 s20, s0, 8
	v_mov_b32_e32 v6, 0
	v_mov_b32_e32 v1, v5
	s_addc_u32 s21, s1, 0
	s_mov_b64 s[22:23], 1
	v_mov_b32_e32 v2, v6
.LBB0_2:                                ; =>This Inner Loop Header: Depth=1
	s_load_dwordx2 s[24:25], s[20:21], 0x0
                                        ; implicit-def: $vgpr3_vgpr4
	s_waitcnt lgkmcnt(0)
	v_or_b32_e32 v8, s25, v10
	v_cmp_ne_u64_e32 vcc, 0, v[7:8]
	s_and_saveexec_b64 s[0:1], vcc
	s_xor_b64 s[26:27], exec, s[0:1]
	s_cbranch_execz .LBB0_4
; %bb.3:                                ;   in Loop: Header=BB0_2 Depth=1
	v_cvt_f32_u32_e32 v3, s24
	v_cvt_f32_u32_e32 v4, s25
	s_sub_u32 s0, 0, s24
	s_subb_u32 s1, 0, s25
	v_mac_f32_e32 v3, 0x4f800000, v4
	v_rcp_f32_e32 v3, v3
	v_mul_f32_e32 v3, 0x5f7ffffc, v3
	v_mul_f32_e32 v4, 0x2f800000, v3
	v_trunc_f32_e32 v4, v4
	v_mac_f32_e32 v3, 0xcf800000, v4
	v_cvt_u32_f32_e32 v4, v4
	v_cvt_u32_f32_e32 v3, v3
	v_mul_lo_u32 v8, s0, v4
	v_mul_hi_u32 v11, s0, v3
	v_mul_lo_u32 v13, s1, v3
	v_mul_lo_u32 v12, s0, v3
	v_add_u32_e32 v8, v11, v8
	v_add_u32_e32 v8, v8, v13
	v_mul_hi_u32 v11, v3, v12
	v_mul_lo_u32 v13, v3, v8
	v_mul_hi_u32 v15, v3, v8
	v_mul_hi_u32 v14, v4, v12
	v_mul_lo_u32 v12, v4, v12
	v_mul_hi_u32 v16, v4, v8
	v_add_co_u32_e32 v11, vcc, v11, v13
	v_addc_co_u32_e32 v13, vcc, 0, v15, vcc
	v_mul_lo_u32 v8, v4, v8
	v_add_co_u32_e32 v11, vcc, v11, v12
	v_addc_co_u32_e32 v11, vcc, v13, v14, vcc
	v_addc_co_u32_e32 v12, vcc, 0, v16, vcc
	v_add_co_u32_e32 v8, vcc, v11, v8
	v_addc_co_u32_e32 v11, vcc, 0, v12, vcc
	v_add_co_u32_e32 v3, vcc, v3, v8
	v_addc_co_u32_e32 v4, vcc, v4, v11, vcc
	v_mul_lo_u32 v8, s0, v4
	v_mul_hi_u32 v11, s0, v3
	v_mul_lo_u32 v12, s1, v3
	v_mul_lo_u32 v13, s0, v3
	v_add_u32_e32 v8, v11, v8
	v_add_u32_e32 v8, v8, v12
	v_mul_lo_u32 v14, v3, v8
	v_mul_hi_u32 v15, v3, v13
	v_mul_hi_u32 v16, v3, v8
	v_mul_hi_u32 v12, v4, v13
	v_mul_lo_u32 v13, v4, v13
	v_mul_hi_u32 v11, v4, v8
	v_add_co_u32_e32 v14, vcc, v15, v14
	v_addc_co_u32_e32 v15, vcc, 0, v16, vcc
	v_mul_lo_u32 v8, v4, v8
	v_add_co_u32_e32 v13, vcc, v14, v13
	v_addc_co_u32_e32 v12, vcc, v15, v12, vcc
	v_addc_co_u32_e32 v11, vcc, 0, v11, vcc
	v_add_co_u32_e32 v8, vcc, v12, v8
	v_addc_co_u32_e32 v11, vcc, 0, v11, vcc
	v_add_co_u32_e32 v8, vcc, v3, v8
	v_addc_co_u32_e32 v11, vcc, v4, v11, vcc
	v_mad_u64_u32 v[3:4], s[0:1], v9, v11, 0
	v_mul_hi_u32 v12, v9, v8
	v_add_co_u32_e32 v13, vcc, v12, v3
	v_addc_co_u32_e32 v14, vcc, 0, v4, vcc
	v_mad_u64_u32 v[3:4], s[0:1], v10, v8, 0
	v_mad_u64_u32 v[11:12], s[0:1], v10, v11, 0
	v_add_co_u32_e32 v3, vcc, v13, v3
	v_addc_co_u32_e32 v3, vcc, v14, v4, vcc
	v_addc_co_u32_e32 v4, vcc, 0, v12, vcc
	v_add_co_u32_e32 v8, vcc, v3, v11
	v_addc_co_u32_e32 v11, vcc, 0, v4, vcc
	v_mul_lo_u32 v12, s25, v8
	v_mul_lo_u32 v13, s24, v11
	v_mad_u64_u32 v[3:4], s[0:1], s24, v8, 0
	v_add3_u32 v4, v4, v13, v12
	v_sub_u32_e32 v12, v10, v4
	v_mov_b32_e32 v13, s25
	v_sub_co_u32_e32 v3, vcc, v9, v3
	v_subb_co_u32_e64 v12, s[0:1], v12, v13, vcc
	v_subrev_co_u32_e64 v13, s[0:1], s24, v3
	v_subbrev_co_u32_e64 v12, s[0:1], 0, v12, s[0:1]
	v_cmp_le_u32_e64 s[0:1], s25, v12
	v_cndmask_b32_e64 v14, 0, -1, s[0:1]
	v_cmp_le_u32_e64 s[0:1], s24, v13
	v_cndmask_b32_e64 v13, 0, -1, s[0:1]
	v_cmp_eq_u32_e64 s[0:1], s25, v12
	v_cndmask_b32_e64 v12, v14, v13, s[0:1]
	v_add_co_u32_e64 v13, s[0:1], 2, v8
	v_addc_co_u32_e64 v14, s[0:1], 0, v11, s[0:1]
	v_add_co_u32_e64 v15, s[0:1], 1, v8
	v_addc_co_u32_e64 v16, s[0:1], 0, v11, s[0:1]
	v_subb_co_u32_e32 v4, vcc, v10, v4, vcc
	v_cmp_ne_u32_e64 s[0:1], 0, v12
	v_cmp_le_u32_e32 vcc, s25, v4
	v_cndmask_b32_e64 v12, v16, v14, s[0:1]
	v_cndmask_b32_e64 v14, 0, -1, vcc
	v_cmp_le_u32_e32 vcc, s24, v3
	v_cndmask_b32_e64 v3, 0, -1, vcc
	v_cmp_eq_u32_e32 vcc, s25, v4
	v_cndmask_b32_e32 v3, v14, v3, vcc
	v_cmp_ne_u32_e32 vcc, 0, v3
	v_cndmask_b32_e64 v3, v15, v13, s[0:1]
	v_cndmask_b32_e32 v4, v11, v12, vcc
	v_cndmask_b32_e32 v3, v8, v3, vcc
.LBB0_4:                                ;   in Loop: Header=BB0_2 Depth=1
	s_andn2_saveexec_b64 s[0:1], s[26:27]
	s_cbranch_execz .LBB0_6
; %bb.5:                                ;   in Loop: Header=BB0_2 Depth=1
	v_cvt_f32_u32_e32 v3, s24
	s_sub_i32 s26, 0, s24
	v_rcp_iflag_f32_e32 v3, v3
	v_mul_f32_e32 v3, 0x4f7ffffe, v3
	v_cvt_u32_f32_e32 v3, v3
	v_mul_lo_u32 v4, s26, v3
	v_mul_hi_u32 v4, v3, v4
	v_add_u32_e32 v3, v3, v4
	v_mul_hi_u32 v3, v9, v3
	v_mul_lo_u32 v4, v3, s24
	v_add_u32_e32 v8, 1, v3
	v_sub_u32_e32 v4, v9, v4
	v_subrev_u32_e32 v11, s24, v4
	v_cmp_le_u32_e32 vcc, s24, v4
	v_cndmask_b32_e32 v4, v4, v11, vcc
	v_cndmask_b32_e32 v3, v3, v8, vcc
	v_add_u32_e32 v8, 1, v3
	v_cmp_le_u32_e32 vcc, s24, v4
	v_cndmask_b32_e32 v3, v3, v8, vcc
	v_mov_b32_e32 v4, v7
.LBB0_6:                                ;   in Loop: Header=BB0_2 Depth=1
	s_or_b64 exec, exec, s[0:1]
	v_mul_lo_u32 v8, v4, s24
	v_mul_lo_u32 v13, v3, s25
	v_mad_u64_u32 v[11:12], s[0:1], v3, s24, 0
	s_load_dwordx2 s[0:1], s[6:7], 0x0
	s_load_dwordx2 s[24:25], s[2:3], 0x0
	v_add3_u32 v8, v12, v13, v8
	v_sub_co_u32_e32 v9, vcc, v9, v11
	v_subb_co_u32_e32 v8, vcc, v10, v8, vcc
	s_waitcnt lgkmcnt(0)
	v_mul_lo_u32 v10, s0, v8
	v_mul_lo_u32 v11, s1, v9
	v_mad_u64_u32 v[5:6], s[0:1], s0, v9, v[5:6]
	v_mul_lo_u32 v8, s24, v8
	v_mul_lo_u32 v12, s25, v9
	v_mad_u64_u32 v[1:2], s[0:1], s24, v9, v[1:2]
	s_add_u32 s22, s22, 1
	s_addc_u32 s23, s23, 0
	s_add_u32 s2, s2, 8
	v_add3_u32 v2, v12, v2, v8
	s_addc_u32 s3, s3, 0
	v_mov_b32_e32 v8, s14
	s_add_u32 s6, s6, 8
	v_mov_b32_e32 v9, s15
	s_addc_u32 s7, s7, 0
	v_cmp_ge_u64_e32 vcc, s[22:23], v[8:9]
	s_add_u32 s20, s20, 8
	v_add3_u32 v6, v11, v6, v10
	s_addc_u32 s21, s21, 0
	s_cbranch_vccnz .LBB0_9
; %bb.7:                                ;   in Loop: Header=BB0_2 Depth=1
	v_mov_b32_e32 v10, v4
	v_mov_b32_e32 v9, v3
	s_branch .LBB0_2
.LBB0_8:
	v_mov_b32_e32 v1, v5
	v_mov_b32_e32 v3, v9
	;; [unrolled: 1-line block ×4, first 2 shown]
.LBB0_9:
	s_load_dwordx2 s[4:5], s[4:5], 0x28
	s_lshl_b64 s[6:7], s[14:15], 3
	s_add_u32 s2, s18, s6
	s_addc_u32 s3, s19, s7
                                        ; implicit-def: $sgpr14
                                        ; implicit-def: $vgpr7
	s_waitcnt lgkmcnt(0)
	v_cmp_gt_u64_e64 s[0:1], s[4:5], v[3:4]
	v_cmp_le_u64_e32 vcc, s[4:5], v[3:4]
	s_and_saveexec_b64 s[4:5], vcc
	s_xor_b64 s[4:5], exec, s[4:5]
; %bb.10:
	s_mov_b32 s14, 0x2082083
	v_mul_hi_u32 v5, v0, s14
	s_mov_b32 s14, 0
	v_mul_u32_u24_e32 v5, 0x7e, v5
	v_sub_u32_e32 v7, v0, v5
                                        ; implicit-def: $vgpr0
                                        ; implicit-def: $vgpr5_vgpr6
; %bb.11:
	s_or_saveexec_b64 s[4:5], s[4:5]
	s_load_dwordx2 s[2:3], s[2:3], 0x0
	v_mov_b32_e32 v14, s14
	v_mov_b32_e32 v30, s14
                                        ; implicit-def: $vgpr12
                                        ; implicit-def: $vgpr8
                                        ; implicit-def: $vgpr13
                                        ; implicit-def: $vgpr16
                                        ; implicit-def: $vgpr17
                                        ; implicit-def: $vgpr10
                                        ; implicit-def: $vgpr18
                                        ; implicit-def: $vgpr31
                                        ; implicit-def: $vgpr19
                                        ; implicit-def: $vgpr11
                                        ; implicit-def: $vgpr20
                                        ; implicit-def: $vgpr33
                                        ; implicit-def: $vgpr21
                                        ; implicit-def: $vgpr15
                                        ; implicit-def: $vgpr22
                                        ; implicit-def: $vgpr34
                                        ; implicit-def: $vgpr23
                                        ; implicit-def: $vgpr29
                                        ; implicit-def: $vgpr24
                                        ; implicit-def: $vgpr36
                                        ; implicit-def: $vgpr25
                                        ; implicit-def: $vgpr32
                                        ; implicit-def: $vgpr26
                                        ; implicit-def: $vgpr37
                                        ; implicit-def: $vgpr27
                                        ; implicit-def: $vgpr35
                                        ; implicit-def: $vgpr28
                                        ; implicit-def: $vgpr38
                                        ; implicit-def: $vgpr9
                                        ; implicit-def: $vgpr39
	s_xor_b64 exec, exec, s[4:5]
	s_cbranch_execz .LBB0_15
; %bb.12:
	s_add_u32 s6, s16, s6
	s_addc_u32 s7, s17, s7
	s_load_dwordx2 s[6:7], s[6:7], 0x0
	s_mov_b32 s14, 0x2082083
	v_mul_hi_u32 v7, v0, s14
	v_lshlrev_b64 v[5:6], 2, v[5:6]
	v_mov_b32_e32 v30, 0
	s_waitcnt lgkmcnt(0)
	v_mul_lo_u32 v10, s7, v3
	v_mul_lo_u32 v11, s6, v4
	v_mad_u64_u32 v[8:9], s[6:7], s6, v3, 0
	v_mul_u32_u24_e32 v7, 0x7e, v7
	v_sub_u32_e32 v7, v0, v7
	v_add3_u32 v9, v9, v11, v10
	v_lshlrev_b64 v[8:9], 2, v[8:9]
	v_mov_b32_e32 v0, s9
	v_add_co_u32_e32 v8, vcc, s8, v8
	v_addc_co_u32_e32 v0, vcc, v0, v9, vcc
	v_add_co_u32_e32 v5, vcc, v8, v5
	v_addc_co_u32_e32 v0, vcc, v0, v6, vcc
	v_lshlrev_b32_e32 v6, 2, v7
	v_add_co_u32_e32 v5, vcc, v5, v6
	v_addc_co_u32_e32 v6, vcc, 0, v0, vcc
	s_movk_i32 s6, 0x1000
	v_add_co_u32_e32 v12, vcc, s6, v5
	v_addc_co_u32_e32 v13, vcc, 0, v6, vcc
	global_load_dword v8, v[5:6], off
	global_load_dword v10, v[5:6], off offset:504
	global_load_dword v11, v[5:6], off offset:1008
	;; [unrolled: 1-line block ×13, first 2 shown]
	v_cmp_gt_u32_e32 vcc, 63, v7
	v_mov_b32_e32 v14, 0
                                        ; implicit-def: $vgpr39
                                        ; implicit-def: $vgpr9
	s_and_saveexec_b64 s[6:7], vcc
	s_cbranch_execz .LBB0_14
; %bb.13:
	v_add_co_u32_e32 v12, vcc, 0x1000, v5
	v_addc_co_u32_e32 v13, vcc, 0, v6, vcc
	global_load_dword v30, v[5:6], off offset:3528
	global_load_dword v39, v[12:13], off offset:3212
	s_waitcnt vmcnt(1)
	v_lshrrev_b32_e32 v14, 16, v30
	s_waitcnt vmcnt(0)
	v_lshrrev_b32_e32 v9, 16, v39
.LBB0_14:
	s_or_b64 exec, exec, s[6:7]
	s_waitcnt vmcnt(13)
	v_lshrrev_b32_e32 v12, 16, v8
	s_waitcnt vmcnt(7)
	v_lshrrev_b32_e32 v13, 16, v16
	v_lshrrev_b32_e32 v17, 16, v10
	s_waitcnt vmcnt(5)
	v_lshrrev_b32_e32 v18, 16, v31
	;; [unrolled: 3-line block ×7, first 2 shown]
.LBB0_15:
	s_or_b64 exec, exec, s[4:5]
	v_sub_f16_e32 v0, v8, v16
	v_fma_f16 v5, v8, 2.0, -v0
	v_sub_f16_e32 v16, v10, v31
	v_fma_f16 v10, v10, 2.0, -v16
	v_sub_f16_e32 v31, v11, v33
	v_lshl_add_u32 v46, v7, 2, 0
	v_pack_b32_f16 v0, v5, v0
	v_add_u32_e32 v8, 0x7e, v7
	v_fma_f16 v11, v11, 2.0, -v31
	v_sub_f16_e32 v33, v15, v34
	v_sub_f16_e32 v34, v29, v36
	ds_write_b32 v46, v0
	v_lshl_add_u32 v36, v8, 2, 0
	v_pack_b32_f16 v0, v10, v16
	v_add_u32_e32 v5, 0xfc, v7
	v_fma_f16 v15, v15, 2.0, -v33
	v_sub_f16_e32 v44, v35, v38
	ds_write_b32 v36, v0
	v_lshl_add_u32 v38, v5, 2, 0
	v_pack_b32_f16 v0, v11, v31
	v_add_u32_e32 v11, 0x17a, v7
	v_fma_f16 v29, v29, 2.0, -v34
	;; [unrolled: 6-line block ×3, first 2 shown]
	v_fma_f16 v35, v35, 2.0, -v44
	ds_write_b32 v40, v0
	v_lshl_add_u32 v41, v10, 2, 0
	v_pack_b32_f16 v0, v29, v34
	ds_write_b32 v41, v0
	v_pack_b32_f16 v0, v32, v37
	v_pack_b32_f16 v15, v35, v44
	v_add_u32_e32 v16, 0x800, v46
	ds_write2_b32 v16, v0, v15 offset0:118 offset1:244
	v_add_u32_e32 v0, 0x372, v7
	v_sub_f16_e32 v6, v30, v39
	v_add_u32_e32 v42, 0x9d8, v46
	v_add_u32_e32 v43, 0xbd0, v46
	v_cmp_gt_u32_e32 vcc, 63, v7
	v_lshl_add_u32 v39, v0, 2, 0
	s_and_saveexec_b64 s[4:5], vcc
	s_cbranch_execz .LBB0_17
; %bb.16:
	v_fma_f16 v0, v30, 2.0, -v6
	s_mov_b32 s6, 0x5040100
	v_perm_b32 v0, v6, v0, s6
	ds_write_b32 v39, v0
.LBB0_17:
	s_or_b64 exec, exec, s[4:5]
	v_sub_f16_e32 v32, v12, v13
	v_lshl_add_u32 v0, v7, 1, 0
	v_fma_f16 v33, v12, 2.0, -v32
	s_waitcnt lgkmcnt(0)
	s_barrier
	ds_read_u16 v31, v0 offset:1764
	ds_read_u16 v29, v0
	ds_read_u16 v16, v0 offset:252
	ds_read_u16 v15, v0 offset:504
	;; [unrolled: 1-line block ×7, first 2 shown]
	v_pack_b32_f16 v48, v33, v32
	ds_read_u16 v35, v0 offset:3024
	ds_read_u16 v33, v0 offset:3276
	;; [unrolled: 1-line block ×6, first 2 shown]
	v_sub_f16_e32 v18, v17, v18
	v_fma_f16 v17, v17, 2.0, -v18
	v_pack_b32_f16 v17, v17, v18
	v_sub_f16_e32 v18, v19, v20
	v_fma_f16 v19, v19, 2.0, -v18
	v_sub_f16_e32 v20, v21, v22
	s_waitcnt lgkmcnt(0)
	s_barrier
	v_fma_f16 v21, v21, 2.0, -v20
	v_sub_f16_e32 v22, v23, v24
	ds_write_b32 v36, v17
	v_pack_b32_f16 v17, v19, v18
	v_fma_f16 v23, v23, 2.0, -v22
	v_sub_f16_e32 v24, v25, v26
	ds_write_b32 v38, v17
	v_pack_b32_f16 v17, v21, v20
	;; [unrolled: 4-line block ×3, first 2 shown]
	v_fma_f16 v27, v27, 2.0, -v26
	ds_write_b32 v41, v17
	v_pack_b32_f16 v17, v25, v24
	v_sub_f16_e32 v9, v14, v9
	ds_write_b32 v42, v17
	v_pack_b32_f16 v17, v27, v26
	ds_write_b32 v46, v48
	ds_write_b32 v43, v17
	s_and_saveexec_b64 s[4:5], vcc
	s_cbranch_execz .LBB0_19
; %bb.18:
	v_fma_f16 v14, v14, 2.0, -v9
	s_mov_b32 s6, 0x5040100
	v_perm_b32 v14, v9, v14, s6
	ds_write_b32 v39, v14
.LBB0_19:
	s_or_b64 exec, exec, s[4:5]
	v_and_b32_e32 v41, 1, v7
	v_lshlrev_b32_e32 v17, 3, v41
	s_waitcnt lgkmcnt(0)
	s_barrier
	ds_read_u16 v14, v0
	ds_read_u16 v19, v0 offset:1260
	ds_read_u16 v20, v0 offset:2520
	ds_read_u16 v21, v0 offset:252
	ds_read_u16 v22, v0 offset:1512
	ds_read_u16 v23, v0 offset:2772
	ds_read_u16 v24, v0 offset:504
	ds_read_u16 v25, v0 offset:1764
	ds_read_u16 v26, v0 offset:3024
	ds_read_u16 v27, v0 offset:756
	ds_read_u16 v28, v0 offset:2016
	ds_read_u16 v36, v0 offset:3276
	ds_read_u16 v38, v0 offset:1008
	ds_read_u16 v39, v0 offset:2268
	ds_read_u16 v40, v0 offset:3528
	global_load_dwordx2 v[17:18], v17, s[12:13]
	s_movk_i32 s6, 0x3aee
	s_mov_b32 s7, 0xbaee
	s_waitcnt vmcnt(0) lgkmcnt(0)
	s_barrier
	s_movk_i32 s4, 0xab
	v_cmp_gt_u32_e32 vcc, 18, v7
	v_mul_f16_sdwa v42, v19, v17 dst_sel:DWORD dst_unused:UNUSED_PAD src0_sel:DWORD src1_sel:WORD_1
	v_fma_f16 v42, v44, v17, -v42
	v_mul_f16_sdwa v43, v44, v17 dst_sel:DWORD dst_unused:UNUSED_PAD src0_sel:DWORD src1_sel:WORD_1
	v_mul_f16_sdwa v44, v47, v18 dst_sel:DWORD dst_unused:UNUSED_PAD src0_sel:DWORD src1_sel:WORD_1
	v_fma_f16 v19, v19, v17, v43
	v_mul_f16_sdwa v43, v20, v18 dst_sel:DWORD dst_unused:UNUSED_PAD src0_sel:DWORD src1_sel:WORD_1
	v_fma_f16 v20, v20, v18, v44
	v_mul_f16_sdwa v44, v22, v17 dst_sel:DWORD dst_unused:UNUSED_PAD src0_sel:DWORD src1_sel:WORD_1
	v_fma_f16 v44, v37, v17, -v44
	v_mul_f16_sdwa v37, v37, v17 dst_sel:DWORD dst_unused:UNUSED_PAD src0_sel:DWORD src1_sel:WORD_1
	v_fma_f16 v22, v22, v17, v37
	v_mul_f16_sdwa v37, v23, v18 dst_sel:DWORD dst_unused:UNUSED_PAD src0_sel:DWORD src1_sel:WORD_1
	v_fma_f16 v37, v45, v18, -v37
	;; [unrolled: 4-line block ×7, first 2 shown]
	v_mul_f16_sdwa v34, v34, v17 dst_sel:DWORD dst_unused:UNUSED_PAD src0_sel:DWORD src1_sel:WORD_1
	v_fma_f16 v43, v47, v18, -v43
	v_fma_f16 v17, v39, v17, v34
	v_mul_f16_sdwa v34, v40, v18 dst_sel:DWORD dst_unused:UNUSED_PAD src0_sel:DWORD src1_sel:WORD_1
	v_fma_f16 v34, v32, v18, -v34
	v_mul_f16_sdwa v32, v32, v18 dst_sel:DWORD dst_unused:UNUSED_PAD src0_sel:DWORD src1_sel:WORD_1
	v_add_f16_e32 v39, v42, v43
	v_fma_f16 v18, v40, v18, v32
	v_add_f16_e32 v32, v29, v42
	v_fma_f16 v29, v39, -0.5, v29
	v_sub_f16_e32 v39, v19, v20
	v_fma_f16 v40, v39, s6, v29
	v_fma_f16 v29, v39, s7, v29
	v_add_f16_e32 v39, v14, v19
	v_add_f16_e32 v19, v19, v20
	v_fma_f16 v14, v19, -0.5, v14
	v_sub_f16_e32 v19, v42, v43
	v_add_f16_e32 v42, v44, v37
	v_add_f16_e32 v39, v39, v20
	v_fma_f16 v20, v19, s7, v14
	v_fma_f16 v14, v19, s6, v14
	v_add_f16_e32 v19, v16, v44
	v_fma_f16 v16, v42, -0.5, v16
	v_sub_f16_e32 v42, v22, v23
	v_add_f16_e32 v32, v32, v43
	v_fma_f16 v43, v42, s6, v16
	v_fma_f16 v16, v42, s7, v16
	v_add_f16_e32 v42, v21, v22
	v_add_f16_e32 v22, v22, v23
	v_add_f16_e32 v19, v19, v37
	v_fma_f16 v21, v22, -0.5, v21
	v_sub_f16_e32 v22, v44, v37
	v_add_f16_e32 v37, v45, v31
	v_add_f16_e32 v42, v42, v23
	v_fma_f16 v23, v22, s7, v21
	v_fma_f16 v21, v22, s6, v21
	v_add_f16_e32 v22, v15, v45
	v_fma_f16 v15, v37, -0.5, v15
	v_sub_f16_e32 v37, v25, v26
	v_fma_f16 v44, v37, s6, v15
	v_fma_f16 v15, v37, s7, v15
	v_add_f16_e32 v37, v24, v25
	v_add_f16_e32 v25, v25, v26
	v_add_f16_e32 v22, v22, v31
	v_fma_f16 v24, v25, -0.5, v24
	v_sub_f16_e32 v25, v45, v31
	v_add_f16_e32 v31, v35, v30
	v_add_f16_e32 v37, v37, v26
	v_fma_f16 v26, v25, s7, v24
	v_fma_f16 v24, v25, s6, v24
	v_add_f16_e32 v25, v13, v35
	v_fma_f16 v13, v31, -0.5, v13
	v_sub_f16_e32 v31, v28, v33
	;; [unrolled: 14-line block ×3, first 2 shown]
	v_fma_f16 v35, v33, s6, v12
	v_fma_f16 v12, v33, s7, v12
	v_add_f16_e32 v33, v38, v17
	v_add_f16_e32 v17, v17, v18
	;; [unrolled: 1-line block ×3, first 2 shown]
	v_fma_f16 v17, v17, -0.5, v38
	v_sub_f16_e32 v18, v36, v34
	v_add_f16_e32 v28, v28, v34
	v_fma_f16 v34, v18, s7, v17
	v_fma_f16 v17, v18, s6, v17
	v_lshrrev_b32_e32 v18, 1, v7
	v_mul_u32_u24_e32 v18, 6, v18
	v_or_b32_e32 v18, v18, v41
	v_lshl_add_u32 v18, v18, 1, 0
	ds_write_b16 v18, v32
	ds_write_b16 v18, v40 offset:4
	ds_write_b16 v18, v29 offset:8
	v_lshrrev_b32_e32 v29, 1, v8
	v_mul_u32_u24_e32 v29, 6, v29
	v_or_b32_e32 v29, v29, v41
	v_lshl_add_u32 v29, v29, 1, 0
	ds_write_b16 v29, v19
	ds_write_b16 v29, v43 offset:4
	ds_write_b16 v29, v16 offset:8
	;; [unrolled: 7-line block ×5, first 2 shown]
	v_mul_lo_u16_sdwa v12, v7, s4 dst_sel:DWORD dst_unused:UNUSED_PAD src0_sel:BYTE_0 src1_sel:DWORD
	s_waitcnt lgkmcnt(0)
	s_barrier
	ds_read_u16 v19, v0
	ds_read_u16 v22, v0 offset:1260
	ds_read_u16 v25, v0 offset:2520
	;; [unrolled: 1-line block ×14, first 2 shown]
	s_waitcnt lgkmcnt(0)
	s_barrier
	ds_write_b16 v18, v39
	ds_write_b16 v18, v20 offset:4
	ds_write_b16 v18, v14 offset:8
	ds_write_b16 v29, v42
	ds_write_b16 v29, v23 offset:4
	ds_write_b16 v29, v21 offset:8
	;; [unrolled: 3-line block ×5, first 2 shown]
	v_lshrrev_b16_e32 v34, 10, v12
	v_mul_lo_u16_e32 v12, 6, v34
	v_sub_u16_e32 v12, v7, v12
	v_mov_b32_e32 v37, 1
	v_mov_b32_e32 v42, 3
	v_lshlrev_b32_sdwa v39, v37, v12 dst_sel:DWORD dst_unused:UNUSED_PAD src0_sel:DWORD src1_sel:BYTE_0
	v_lshlrev_b32_sdwa v12, v42, v12 dst_sel:DWORD dst_unused:UNUSED_PAD src0_sel:DWORD src1_sel:BYTE_0
	s_waitcnt lgkmcnt(0)
	s_barrier
	ds_read_u16 v14, v0
	ds_read_u16 v15, v0 offset:1260
	ds_read_u16 v16, v0 offset:2520
	;; [unrolled: 1-line block ×14, first 2 shown]
	global_load_dwordx2 v[12:13], v12, s[12:13] offset:16
	s_waitcnt vmcnt(0) lgkmcnt(13)
	v_mul_f16_sdwa v48, v15, v12 dst_sel:DWORD dst_unused:UNUSED_PAD src0_sel:DWORD src1_sel:WORD_1
	v_fma_f16 v48, v22, v12, -v48
	v_mul_f16_sdwa v22, v22, v12 dst_sel:DWORD dst_unused:UNUSED_PAD src0_sel:DWORD src1_sel:WORD_1
	v_fma_f16 v15, v15, v12, v22
	s_waitcnt lgkmcnt(12)
	v_mul_f16_sdwa v12, v16, v13 dst_sel:DWORD dst_unused:UNUSED_PAD src0_sel:DWORD src1_sel:WORD_1
	v_fma_f16 v22, v25, v13, -v12
	v_mul_f16_sdwa v12, v25, v13 dst_sel:DWORD dst_unused:UNUSED_PAD src0_sel:DWORD src1_sel:WORD_1
	v_fma_f16 v16, v16, v13, v12
	v_mul_lo_u16_sdwa v12, v8, s4 dst_sel:DWORD dst_unused:UNUSED_PAD src0_sel:BYTE_0 src1_sel:DWORD
	v_lshrrev_b16_e32 v25, 10, v12
	v_mul_lo_u16_e32 v12, 6, v25
	v_sub_u16_e32 v12, v8, v12
	v_lshlrev_b32_sdwa v49, v37, v12 dst_sel:DWORD dst_unused:UNUSED_PAD src0_sel:DWORD src1_sel:BYTE_0
	v_lshlrev_b32_sdwa v12, v42, v12 dst_sel:DWORD dst_unused:UNUSED_PAD src0_sel:DWORD src1_sel:BYTE_0
	global_load_dwordx2 v[12:13], v12, s[12:13] offset:16
	s_mov_b32 s4, 0xaaab
	s_waitcnt vmcnt(0) lgkmcnt(10)
	v_mul_f16_sdwa v50, v18, v12 dst_sel:DWORD dst_unused:UNUSED_PAD src0_sel:DWORD src1_sel:WORD_1
	v_fma_f16 v50, v32, v12, -v50
	v_mul_f16_sdwa v32, v32, v12 dst_sel:DWORD dst_unused:UNUSED_PAD src0_sel:DWORD src1_sel:WORD_1
	v_fma_f16 v18, v18, v12, v32
	s_waitcnt lgkmcnt(9)
	v_mul_f16_sdwa v12, v20, v13 dst_sel:DWORD dst_unused:UNUSED_PAD src0_sel:DWORD src1_sel:WORD_1
	v_fma_f16 v32, v35, v13, -v12
	v_mul_f16_sdwa v12, v35, v13 dst_sel:DWORD dst_unused:UNUSED_PAD src0_sel:DWORD src1_sel:WORD_1
	v_fma_f16 v20, v20, v13, v12
	v_mul_u32_u24_sdwa v12, v5, s4 dst_sel:DWORD dst_unused:UNUSED_PAD src0_sel:WORD_0 src1_sel:DWORD
	v_lshrrev_b32_e32 v35, 18, v12
	v_mul_lo_u16_e32 v12, 6, v35
	v_sub_u16_e32 v12, v5, v12
	v_lshlrev_b32_e32 v51, 1, v12
	v_lshlrev_b32_e32 v12, 3, v12
	global_load_dwordx2 v[12:13], v12, s[12:13] offset:16
	s_waitcnt vmcnt(0) lgkmcnt(7)
	v_mul_f16_sdwa v52, v23, v12 dst_sel:DWORD dst_unused:UNUSED_PAD src0_sel:DWORD src1_sel:WORD_1
	v_fma_f16 v52, v38, v12, -v52
	v_mul_f16_sdwa v38, v38, v12 dst_sel:DWORD dst_unused:UNUSED_PAD src0_sel:DWORD src1_sel:WORD_1
	v_fma_f16 v23, v23, v12, v38
	s_waitcnt lgkmcnt(6)
	v_mul_f16_sdwa v12, v24, v13 dst_sel:DWORD dst_unused:UNUSED_PAD src0_sel:DWORD src1_sel:WORD_1
	v_fma_f16 v38, v40, v13, -v12
	v_mul_f16_sdwa v12, v40, v13 dst_sel:DWORD dst_unused:UNUSED_PAD src0_sel:DWORD src1_sel:WORD_1
	v_fma_f16 v24, v24, v13, v12
	v_mul_u32_u24_sdwa v12, v11, s4 dst_sel:DWORD dst_unused:UNUSED_PAD src0_sel:WORD_0 src1_sel:DWORD
	v_lshrrev_b32_e32 v40, 18, v12
	v_mul_lo_u16_e32 v12, 6, v40
	v_sub_u16_e32 v12, v11, v12
	v_lshlrev_b32_e32 v53, 1, v12
	v_lshlrev_b32_e32 v12, 3, v12
	global_load_dwordx2 v[12:13], v12, s[12:13] offset:16
	;; [unrolled: 17-line block ×3, first 2 shown]
	s_waitcnt vmcnt(0) lgkmcnt(0)
	s_barrier
	s_mov_b32 s4, 0xe38f
	v_mul_f16_sdwa v56, v31, v12 dst_sel:DWORD dst_unused:UNUSED_PAD src0_sel:DWORD src1_sel:WORD_1
	v_fma_f16 v56, v46, v12, -v56
	v_mul_f16_sdwa v46, v46, v12 dst_sel:DWORD dst_unused:UNUSED_PAD src0_sel:DWORD src1_sel:WORD_1
	v_fma_f16 v12, v31, v12, v46
	v_mul_f16_sdwa v31, v33, v13 dst_sel:DWORD dst_unused:UNUSED_PAD src0_sel:DWORD src1_sel:WORD_1
	v_mul_f16_sdwa v46, v47, v13 dst_sel:DWORD dst_unused:UNUSED_PAD src0_sel:DWORD src1_sel:WORD_1
	v_fma_f16 v31, v47, v13, -v31
	v_fma_f16 v13, v33, v13, v46
	v_add_f16_e32 v46, v48, v22
	v_add_f16_e32 v33, v19, v48
	v_fma_f16 v19, v46, -0.5, v19
	v_sub_f16_e32 v46, v15, v16
	v_fma_f16 v47, v46, s6, v19
	v_fma_f16 v19, v46, s7, v19
	v_add_f16_e32 v46, v14, v15
	v_add_f16_e32 v15, v15, v16
	v_add_f16_e32 v33, v33, v22
	v_fma_f16 v14, v15, -0.5, v14
	v_sub_f16_e32 v15, v48, v22
	v_add_f16_e32 v22, v50, v32
	v_add_f16_e32 v46, v46, v16
	v_fma_f16 v16, v15, s7, v14
	v_fma_f16 v14, v15, s6, v14
	v_add_f16_e32 v15, v28, v50
	v_fma_f16 v22, v22, -0.5, v28
	v_sub_f16_e32 v28, v18, v20
	v_fma_f16 v48, v28, s6, v22
	v_fma_f16 v22, v28, s7, v22
	v_add_f16_e32 v28, v17, v18
	v_add_f16_e32 v18, v18, v20
	v_add_f16_e32 v15, v15, v32
	v_fma_f16 v17, v18, -0.5, v17
	v_sub_f16_e32 v18, v50, v32
	v_add_f16_e32 v32, v52, v38
	v_add_f16_e32 v28, v28, v20
	v_fma_f16 v20, v18, s7, v17
	v_fma_f16 v17, v18, s6, v17
	;; [unrolled: 14-line block ×4, first 2 shown]
	v_add_f16_e32 v27, v45, v56
	v_fma_f16 v43, v43, -0.5, v45
	v_sub_f16_e32 v45, v12, v13
	v_fma_f16 v54, v45, s6, v43
	v_fma_f16 v43, v45, s7, v43
	v_add_f16_e32 v45, v30, v12
	v_add_f16_e32 v12, v12, v13
	v_add_f16_e32 v45, v45, v13
	v_fma_f16 v12, v12, -0.5, v30
	v_sub_f16_e32 v13, v56, v31
	v_fma_f16 v30, v13, s7, v12
	v_fma_f16 v12, v13, s6, v12
	v_mul_u32_u24_e32 v13, 36, v34
	v_add3_u32 v13, 0, v13, v39
	ds_write_b16 v13, v33
	ds_write_b16 v13, v47 offset:12
	ds_write_b16 v13, v19 offset:24
	v_mul_u32_u24_e32 v19, 36, v25
	v_add3_u32 v19, 0, v19, v49
	ds_write_b16 v19, v15
	ds_write_b16 v19, v48 offset:12
	ds_write_b16 v19, v22 offset:24
	;; [unrolled: 5-line block ×3, first 2 shown]
	v_mul_u32_u24_e32 v18, 36, v40
	v_mul_u32_u24_e32 v22, 36, v44
	v_add_f16_e32 v27, v27, v31
	v_add3_u32 v18, 0, v18, v53
	v_add3_u32 v22, 0, v22, v55
	ds_write_b16 v18, v23
	ds_write_b16 v18, v52 offset:12
	ds_write_b16 v18, v38 offset:24
	ds_write_b16 v22, v27
	ds_write_b16 v22, v54 offset:12
	ds_write_b16 v22, v43 offset:24
	s_waitcnt lgkmcnt(0)
	s_barrier
	ds_read_u16 v25, v0
	ds_read_u16 v23, v0 offset:1260
	ds_read_u16 v27, v0 offset:2520
	;; [unrolled: 1-line block ×14, first 2 shown]
	s_waitcnt lgkmcnt(0)
	s_barrier
	ds_write_b16 v13, v46
	ds_write_b16 v13, v16 offset:12
	ds_write_b16 v13, v14 offset:24
	ds_write_b16 v19, v28
	ds_write_b16 v19, v20 offset:12
	ds_write_b16 v19, v17 offset:24
	ds_write_b16 v15, v36
	ds_write_b16 v15, v24 offset:12
	ds_write_b16 v15, v21 offset:24
	ds_write_b16 v18, v41
	ds_write_b16 v18, v29 offset:12
	ds_write_b16 v18, v26 offset:24
	ds_write_b16 v22, v45
	ds_write_b16 v22, v30 offset:12
	ds_write_b16 v22, v12 offset:24
	v_mov_b32_e32 v29, 57
	v_mul_lo_u16_sdwa v14, v7, v29 dst_sel:DWORD dst_unused:UNUSED_PAD src0_sel:BYTE_0 src1_sel:DWORD
	v_lshrrev_b16_e32 v55, 10, v14
	v_mul_lo_u16_e32 v14, 18, v55
	v_sub_u16_e32 v14, v7, v14
	v_lshlrev_b32_sdwa v56, v37, v14 dst_sel:DWORD dst_unused:UNUSED_PAD src0_sel:DWORD src1_sel:BYTE_0
	v_lshlrev_b32_sdwa v14, v42, v14 dst_sel:DWORD dst_unused:UNUSED_PAD src0_sel:DWORD src1_sel:BYTE_0
	s_waitcnt lgkmcnt(0)
	s_barrier
	ds_read_u16 v18, v0
	ds_read_u16 v20, v0 offset:1260
	ds_read_u16 v22, v0 offset:2520
	;; [unrolled: 1-line block ×14, first 2 shown]
	global_load_dwordx2 v[14:15], v14, s[12:13] offset:64
	s_waitcnt vmcnt(0) lgkmcnt(13)
	v_mul_f16_sdwa v19, v20, v14 dst_sel:DWORD dst_unused:UNUSED_PAD src0_sel:DWORD src1_sel:WORD_1
	v_mul_f16_sdwa v21, v23, v14 dst_sel:DWORD dst_unused:UNUSED_PAD src0_sel:DWORD src1_sel:WORD_1
	v_fma_f16 v19, v23, v14, -v19
	v_fma_f16 v20, v20, v14, v21
	s_waitcnt lgkmcnt(12)
	v_mul_f16_sdwa v14, v22, v15 dst_sel:DWORD dst_unused:UNUSED_PAD src0_sel:DWORD src1_sel:WORD_1
	v_fma_f16 v21, v27, v15, -v14
	v_mul_f16_sdwa v14, v27, v15 dst_sel:DWORD dst_unused:UNUSED_PAD src0_sel:DWORD src1_sel:WORD_1
	v_fma_f16 v22, v22, v15, v14
	v_mul_lo_u16_sdwa v14, v8, v29 dst_sel:DWORD dst_unused:UNUSED_PAD src0_sel:BYTE_0 src1_sel:DWORD
	v_lshrrev_b16_e32 v27, 10, v14
	v_mul_lo_u16_e32 v14, 18, v27
	v_sub_u16_e32 v14, v8, v14
	v_lshlrev_b32_sdwa v57, v37, v14 dst_sel:DWORD dst_unused:UNUSED_PAD src0_sel:DWORD src1_sel:BYTE_0
	v_lshlrev_b32_sdwa v14, v42, v14 dst_sel:DWORD dst_unused:UNUSED_PAD src0_sel:DWORD src1_sel:BYTE_0
	global_load_dwordx2 v[14:15], v14, s[12:13] offset:64
	s_waitcnt vmcnt(0) lgkmcnt(10)
	v_mul_f16_sdwa v23, v24, v14 dst_sel:DWORD dst_unused:UNUSED_PAD src0_sel:DWORD src1_sel:WORD_1
	v_mul_f16_sdwa v29, v31, v14 dst_sel:DWORD dst_unused:UNUSED_PAD src0_sel:DWORD src1_sel:WORD_1
	v_fma_f16 v23, v31, v14, -v23
	v_fma_f16 v29, v24, v14, v29
	s_waitcnt lgkmcnt(9)
	v_mul_f16_sdwa v14, v26, v15 dst_sel:DWORD dst_unused:UNUSED_PAD src0_sel:DWORD src1_sel:WORD_1
	v_fma_f16 v31, v33, v15, -v14
	v_mul_f16_sdwa v14, v33, v15 dst_sel:DWORD dst_unused:UNUSED_PAD src0_sel:DWORD src1_sel:WORD_1
	v_fma_f16 v33, v26, v15, v14
	v_mul_u32_u24_sdwa v14, v5, s4 dst_sel:DWORD dst_unused:UNUSED_PAD src0_sel:WORD_0 src1_sel:DWORD
	v_lshrrev_b32_e32 v24, 20, v14
	v_mul_lo_u16_e32 v14, 18, v24
	v_sub_u16_e32 v14, v5, v14
	v_lshlrev_b32_e32 v26, 1, v14
	v_lshlrev_b32_e32 v14, 3, v14
	global_load_dwordx2 v[14:15], v14, s[12:13] offset:64
	s_waitcnt vmcnt(0) lgkmcnt(7)
	v_mul_f16_sdwa v37, v28, v14 dst_sel:DWORD dst_unused:UNUSED_PAD src0_sel:DWORD src1_sel:WORD_1
	v_fma_f16 v37, v35, v14, -v37
	v_mul_f16_sdwa v35, v35, v14 dst_sel:DWORD dst_unused:UNUSED_PAD src0_sel:DWORD src1_sel:WORD_1
	v_fma_f16 v41, v28, v14, v35
	s_waitcnt lgkmcnt(6)
	v_mul_f16_sdwa v14, v30, v15 dst_sel:DWORD dst_unused:UNUSED_PAD src0_sel:DWORD src1_sel:WORD_1
	v_fma_f16 v42, v38, v15, -v14
	v_mul_f16_sdwa v14, v38, v15 dst_sel:DWORD dst_unused:UNUSED_PAD src0_sel:DWORD src1_sel:WORD_1
	v_fma_f16 v43, v30, v15, v14
	v_mul_u32_u24_sdwa v14, v11, s4 dst_sel:DWORD dst_unused:UNUSED_PAD src0_sel:WORD_0 src1_sel:DWORD
	v_lshrrev_b32_e32 v28, 20, v14
	v_mul_lo_u16_e32 v14, 18, v28
	v_sub_u16_e32 v11, v11, v14
	v_lshlrev_b32_e32 v30, 1, v11
	v_lshlrev_b32_e32 v11, 3, v11
	global_load_dwordx2 v[14:15], v11, s[12:13] offset:64
	s_waitcnt vmcnt(0) lgkmcnt(4)
	v_mul_f16_sdwa v11, v36, v14 dst_sel:DWORD dst_unused:UNUSED_PAD src0_sel:DWORD src1_sel:WORD_1
	v_fma_f16 v44, v40, v14, -v11
	v_mul_f16_sdwa v11, v40, v14 dst_sel:DWORD dst_unused:UNUSED_PAD src0_sel:DWORD src1_sel:WORD_1
	v_fma_f16 v45, v36, v14, v11
	s_waitcnt lgkmcnt(3)
	v_mul_f16_sdwa v11, v49, v15 dst_sel:DWORD dst_unused:UNUSED_PAD src0_sel:DWORD src1_sel:WORD_1
	v_fma_f16 v46, v47, v15, -v11
	v_mul_f16_sdwa v11, v47, v15 dst_sel:DWORD dst_unused:UNUSED_PAD src0_sel:DWORD src1_sel:WORD_1
	v_fma_f16 v47, v49, v15, v11
	v_mul_u32_u24_sdwa v11, v10, s4 dst_sel:DWORD dst_unused:UNUSED_PAD src0_sel:WORD_0 src1_sel:DWORD
	v_lshrrev_b32_e32 v35, 20, v11
	v_mul_lo_u16_e32 v11, 18, v35
	v_sub_u16_e32 v10, v10, v11
	v_lshlrev_b32_e32 v36, 1, v10
	v_lshlrev_b32_e32 v10, 3, v10
	global_load_dwordx2 v[14:15], v10, s[12:13] offset:64
	s_waitcnt vmcnt(0) lgkmcnt(0)
	s_barrier
	v_mul_f16_sdwa v10, v52, v14 dst_sel:DWORD dst_unused:UNUSED_PAD src0_sel:DWORD src1_sel:WORD_1
	v_mul_f16_sdwa v11, v48, v14 dst_sel:DWORD dst_unused:UNUSED_PAD src0_sel:DWORD src1_sel:WORD_1
	v_fma_f16 v10, v48, v14, -v10
	v_fma_f16 v48, v52, v14, v11
	v_mul_f16_sdwa v11, v53, v15 dst_sel:DWORD dst_unused:UNUSED_PAD src0_sel:DWORD src1_sel:WORD_1
	v_fma_f16 v49, v51, v15, -v11
	v_mul_f16_sdwa v11, v51, v15 dst_sel:DWORD dst_unused:UNUSED_PAD src0_sel:DWORD src1_sel:WORD_1
	v_fma_f16 v54, v53, v15, v11
	v_add_f16_e32 v11, v25, v19
	v_add_f16_e32 v14, v11, v21
	v_add_f16_e32 v11, v19, v21
	v_fma_f16 v11, v11, -0.5, v25
	v_sub_f16_e32 v15, v20, v22
	v_fma_f16 v25, v15, s6, v11
	v_fma_f16 v15, v15, s7, v11
	v_add_f16_e32 v11, v32, v23
	v_add_f16_e32 v38, v11, v31
	v_add_f16_e32 v11, v23, v31
	v_fma_f16 v11, v11, -0.5, v32
	v_sub_f16_e32 v32, v29, v33
	v_fma_f16 v40, v32, s6, v11
	;; [unrolled: 7-line block ×5, first 2 shown]
	v_fma_f16 v11, v50, s7, v11
	v_mul_u32_u24_e32 v50, 0x6c, v55
	v_add3_u32 v55, 0, v50, v56
	ds_write_b16 v55, v14
	ds_write_b16 v55, v25 offset:36
	ds_write_b16 v55, v15 offset:72
	v_mul_u32_u24_e32 v14, 0x6c, v27
	v_add3_u32 v56, 0, v14, v57
	v_mul_u32_u24_e32 v14, 0x6c, v24
	v_add3_u32 v57, 0, v14, v26
	;; [unrolled: 2-line block ×3, first 2 shown]
	v_mul_u32_u24_e32 v14, 0x6c, v35
	ds_write_b16 v56, v38
	ds_write_b16 v56, v40 offset:36
	ds_write_b16 v56, v32 offset:72
	ds_write_b16 v57, v51
	ds_write_b16 v57, v52 offset:36
	ds_write_b16 v57, v34 offset:72
	;; [unrolled: 3-line block ×3, first 2 shown]
	v_add3_u32 v59, 0, v14, v36
	ds_write_b16 v59, v60
	ds_write_b16 v59, v61 offset:36
	ds_write_b16 v59, v11 offset:72
	s_waitcnt lgkmcnt(0)
	s_barrier
	ds_read_u16 v15, v0
	ds_read_u16 v53, v0 offset:540
	ds_read_u16 v52, v0 offset:1080
	;; [unrolled: 1-line block ×13, first 2 shown]
                                        ; implicit-def: $vgpr27
                                        ; implicit-def: $vgpr26
                                        ; implicit-def: $vgpr24
                                        ; implicit-def: $vgpr25
                                        ; implicit-def: $vgpr28
	s_and_saveexec_b64 s[4:5], vcc
	s_cbranch_execz .LBB0_21
; %bb.20:
	ds_read_u16 v11, v0 offset:504
	ds_read_u16 v6, v0 offset:1044
	;; [unrolled: 1-line block ×7, first 2 shown]
.LBB0_21:
	s_or_b64 exec, exec, s[4:5]
	v_add_f16_e32 v60, v18, v20
	v_add_f16_e32 v20, v20, v22
	v_fma_f16 v18, v20, -0.5, v18
	v_sub_f16_e32 v19, v19, v21
	v_add_f16_e32 v21, v29, v33
	v_fma_f16 v20, v19, s7, v18
	v_fma_f16 v18, v19, s6, v18
	v_add_f16_e32 v19, v17, v29
	v_fma_f16 v17, v21, -0.5, v17
	v_sub_f16_e32 v21, v23, v31
	v_add_f16_e32 v23, v41, v43
	v_add_f16_e32 v60, v60, v22
	v_fma_f16 v22, v21, s7, v17
	v_fma_f16 v17, v21, s6, v17
	v_add_f16_e32 v21, v16, v41
	v_fma_f16 v16, v23, -0.5, v16
	v_sub_f16_e32 v23, v37, v42
	v_add_f16_e32 v31, v45, v47
	v_fma_f16 v29, v23, s7, v16
	v_fma_f16 v16, v23, s6, v16
	v_add_f16_e32 v23, v13, v45
	v_fma_f16 v13, v31, -0.5, v13
	v_sub_f16_e32 v31, v44, v46
	v_add_f16_e32 v37, v48, v54
	v_add_f16_e32 v19, v19, v33
	v_fma_f16 v33, v31, s7, v13
	v_fma_f16 v13, v31, s6, v13
	v_add_f16_e32 v31, v12, v48
	v_fma_f16 v12, v37, -0.5, v12
	v_sub_f16_e32 v10, v10, v49
	v_add_f16_e32 v21, v21, v43
	v_add_f16_e32 v23, v23, v47
	v_add_f16_e32 v31, v31, v54
	v_fma_f16 v37, v10, s7, v12
	v_fma_f16 v10, v10, s6, v12
	s_waitcnt lgkmcnt(0)
	s_barrier
	ds_write_b16 v55, v60
	ds_write_b16 v55, v20 offset:36
	ds_write_b16 v55, v18 offset:72
	ds_write_b16 v56, v19
	ds_write_b16 v56, v22 offset:36
	ds_write_b16 v56, v17 offset:72
	;; [unrolled: 3-line block ×5, first 2 shown]
	s_waitcnt lgkmcnt(0)
	s_barrier
	ds_read_u16 v13, v0
	ds_read_u16 v23, v0 offset:2160
	ds_read_u16 v37, v0 offset:1872
	;; [unrolled: 1-line block ×13, first 2 shown]
                                        ; implicit-def: $vgpr44
                                        ; implicit-def: $vgpr41
                                        ; implicit-def: $vgpr43
                                        ; implicit-def: $vgpr42
                                        ; implicit-def: $vgpr45
	s_and_saveexec_b64 s[4:5], vcc
	s_cbranch_execz .LBB0_23
; %bb.22:
	ds_read_u16 v10, v0 offset:504
	ds_read_u16 v9, v0 offset:1044
	;; [unrolled: 1-line block ×7, first 2 shown]
.LBB0_23:
	s_or_b64 exec, exec, s[4:5]
	v_mov_b32_e32 v16, 19
	v_mul_lo_u16_sdwa v18, v7, v16 dst_sel:DWORD dst_unused:UNUSED_PAD src0_sel:BYTE_0 src1_sel:DWORD
	v_lshrrev_b16_e32 v67, 10, v18
	v_mul_lo_u16_sdwa v16, v8, v16 dst_sel:DWORD dst_unused:UNUSED_PAD src0_sel:BYTE_0 src1_sel:DWORD
	v_mul_lo_u16_e32 v18, 54, v67
	v_lshrrev_b16_e32 v69, 10, v16
	v_sub_u16_e32 v68, v7, v18
	v_mov_b32_e32 v18, 6
	v_mul_lo_u16_e32 v16, 54, v69
	v_mul_u32_u24_sdwa v20, v68, v18 dst_sel:DWORD dst_unused:UNUSED_PAD src0_sel:BYTE_0 src1_sel:DWORD
	v_sub_u16_e32 v70, v8, v16
	v_lshlrev_b32_e32 v20, 2, v20
	v_mul_u32_u24_sdwa v16, v70, v18 dst_sel:DWORD dst_unused:UNUSED_PAD src0_sel:BYTE_0 src1_sel:DWORD
	global_load_dwordx4 v[55:58], v20, s[12:13] offset:208
	v_lshlrev_b32_e32 v16, 2, v16
	global_load_dwordx4 v[59:62], v16, s[12:13] offset:208
	v_lshrrev_b16_e32 v18, 1, v5
	v_mul_u32_u24_e32 v18, 0x97b5, v18
	v_lshrrev_b32_e32 v18, 20, v18
	v_mul_lo_u16_e32 v18, 54, v18
	v_sub_u16_e32 v71, v5, v18
	v_mul_u32_u24_e32 v18, 6, v71
	v_lshlrev_b32_e32 v72, 2, v18
	global_load_dwordx2 v[63:64], v20, s[12:13] offset:224
	global_load_dwordx2 v[65:66], v16, s[12:13] offset:224
	s_movk_i32 s7, 0x2b26
	s_movk_i32 s6, 0x3b00
	s_mov_b32 s8, 0xbcab
	s_movk_i32 s9, 0x39e0
	s_mov_b32 s14, 0xb9e0
	;; [unrolled: 2-line block ×3, first 2 shown]
	s_movk_i32 s17, 0x370e
	s_waitcnt vmcnt(3)
	v_mul_f16_sdwa v18, v53, v55 dst_sel:DWORD dst_unused:UNUSED_PAD src0_sel:DWORD src1_sel:WORD_1
	v_mul_f16_sdwa v20, v52, v56 dst_sel:DWORD dst_unused:UNUSED_PAD src0_sel:DWORD src1_sel:WORD_1
	;; [unrolled: 1-line block ×4, first 2 shown]
	s_waitcnt lgkmcnt(6)
	v_mul_f16_sdwa v16, v17, v55 dst_sel:DWORD dst_unused:UNUSED_PAD src0_sel:DWORD src1_sel:WORD_1
	v_fma_f16 v18, v17, v55, v18
	v_mul_f16_sdwa v17, v19, v56 dst_sel:DWORD dst_unused:UNUSED_PAD src0_sel:DWORD src1_sel:WORD_1
	v_fma_f16 v20, v19, v56, v20
	v_mul_f16_sdwa v19, v21, v57 dst_sel:DWORD dst_unused:UNUSED_PAD src0_sel:DWORD src1_sel:WORD_1
	v_fma_f16 v21, v21, v57, v22
	v_mul_f16_sdwa v22, v23, v58 dst_sel:DWORD dst_unused:UNUSED_PAD src0_sel:DWORD src1_sel:WORD_1
	v_fma_f16 v23, v23, v58, v29
	s_waitcnt vmcnt(2)
	v_mul_f16_sdwa v29, v31, v59 dst_sel:DWORD dst_unused:UNUSED_PAD src0_sel:DWORD src1_sel:WORD_1
	v_fma_f16 v29, v30, v59, -v29
	v_mul_f16_sdwa v30, v30, v59 dst_sel:DWORD dst_unused:UNUSED_PAD src0_sel:DWORD src1_sel:WORD_1
	v_fma_f16 v16, v53, v55, -v16
	v_fma_f16 v17, v52, v56, -v17
	;; [unrolled: 1-line block ×4, first 2 shown]
	global_load_dwordx4 v[55:58], v72, s[12:13] offset:208
	v_fma_f16 v31, v31, v59, v30
	v_mul_f16_sdwa v30, v33, v60 dst_sel:DWORD dst_unused:UNUSED_PAD src0_sel:DWORD src1_sel:WORD_1
	v_fma_f16 v30, v32, v60, -v30
	v_mul_f16_sdwa v32, v32, v60 dst_sel:DWORD dst_unused:UNUSED_PAD src0_sel:DWORD src1_sel:WORD_1
	v_fma_f16 v33, v33, v60, v32
	global_load_dwordx2 v[59:60], v72, s[12:13] offset:224
	v_mul_f16_sdwa v32, v37, v61 dst_sel:DWORD dst_unused:UNUSED_PAD src0_sel:DWORD src1_sel:WORD_1
	v_fma_f16 v32, v36, v61, -v32
	v_mul_f16_sdwa v36, v36, v61 dst_sel:DWORD dst_unused:UNUSED_PAD src0_sel:DWORD src1_sel:WORD_1
	v_fma_f16 v36, v37, v61, v36
	s_waitcnt lgkmcnt(0)
	v_mul_f16_sdwa v37, v54, v62 dst_sel:DWORD dst_unused:UNUSED_PAD src0_sel:DWORD src1_sel:WORD_1
	v_fma_f16 v37, v38, v62, -v37
	v_mul_f16_sdwa v38, v38, v62 dst_sel:DWORD dst_unused:UNUSED_PAD src0_sel:DWORD src1_sel:WORD_1
	s_waitcnt vmcnt(3)
	v_mul_f16_sdwa v50, v49, v63 dst_sel:DWORD dst_unused:UNUSED_PAD src0_sel:DWORD src1_sel:WORD_1
	v_fma_f16 v38, v54, v62, v38
	v_mul_f16_sdwa v51, v40, v63 dst_sel:DWORD dst_unused:UNUSED_PAD src0_sel:DWORD src1_sel:WORD_1
	v_mul_f16_sdwa v52, v46, v64 dst_sel:DWORD dst_unused:UNUSED_PAD src0_sel:DWORD src1_sel:WORD_1
	;; [unrolled: 1-line block ×3, first 2 shown]
	v_fma_f16 v50, v40, v63, -v50
	s_waitcnt vmcnt(2)
	v_mul_f16_sdwa v40, v47, v65 dst_sel:DWORD dst_unused:UNUSED_PAD src0_sel:DWORD src1_sel:WORD_1
	v_fma_f16 v51, v49, v63, v51
	v_mul_f16_sdwa v49, v34, v65 dst_sel:DWORD dst_unused:UNUSED_PAD src0_sel:DWORD src1_sel:WORD_1
	v_fma_f16 v52, v39, v64, -v52
	v_fma_f16 v53, v46, v64, v53
	v_fma_f16 v46, v34, v65, -v40
	v_mul_f16_sdwa v39, v48, v66 dst_sel:DWORD dst_unused:UNUSED_PAD src0_sel:DWORD src1_sel:WORD_1
	v_mul_f16_sdwa v54, v35, v66 dst_sel:DWORD dst_unused:UNUSED_PAD src0_sel:DWORD src1_sel:WORD_1
	v_fma_f16 v47, v47, v65, v49
	v_fma_f16 v49, v35, v66, -v39
	v_fma_f16 v48, v48, v66, v54
	s_waitcnt vmcnt(0)
	s_barrier
	v_mul_f16_sdwa v62, v6, v55 dst_sel:DWORD dst_unused:UNUSED_PAD src0_sel:DWORD src1_sel:WORD_1
	v_mul_f16_sdwa v61, v9, v55 dst_sel:DWORD dst_unused:UNUSED_PAD src0_sel:DWORD src1_sel:WORD_1
	;; [unrolled: 1-line block ×4, first 2 shown]
	v_fma_f16 v34, v9, v55, v62
	v_mul_f16_sdwa v9, v26, v58 dst_sel:DWORD dst_unused:UNUSED_PAD src0_sel:DWORD src1_sel:WORD_1
	v_mul_f16_sdwa v63, v27, v56 dst_sel:DWORD dst_unused:UNUSED_PAD src0_sel:DWORD src1_sel:WORD_1
	v_fma_f16 v27, v27, v56, -v40
	v_fma_f16 v40, v26, v58, -v64
	v_fma_f16 v26, v41, v58, v9
	v_mul_f16_sdwa v9, v42, v59 dst_sel:DWORD dst_unused:UNUSED_PAD src0_sel:DWORD src1_sel:WORD_1
	v_fma_f16 v41, v25, v59, -v9
	v_mul_f16_sdwa v9, v25, v59 dst_sel:DWORD dst_unused:UNUSED_PAD src0_sel:DWORD src1_sel:WORD_1
	v_fma_f16 v25, v42, v59, v9
	v_mul_f16_sdwa v9, v43, v60 dst_sel:DWORD dst_unused:UNUSED_PAD src0_sel:DWORD src1_sel:WORD_1
	v_fma_f16 v42, v24, v60, -v9
	v_mul_f16_sdwa v9, v24, v60 dst_sel:DWORD dst_unused:UNUSED_PAD src0_sel:DWORD src1_sel:WORD_1
	v_mul_f16_sdwa v39, v45, v57 dst_sel:DWORD dst_unused:UNUSED_PAD src0_sel:DWORD src1_sel:WORD_1
	;; [unrolled: 1-line block ×3, first 2 shown]
	v_fma_f16 v35, v44, v56, v63
	v_fma_f16 v24, v43, v60, v9
	v_add_f16_e32 v9, v16, v52
	v_add_f16_e32 v44, v17, v50
	v_fma_f16 v6, v6, v55, -v61
	v_fma_f16 v28, v28, v57, -v39
	v_fma_f16 v39, v45, v57, v54
	v_sub_f16_e32 v43, v18, v53
	v_sub_f16_e32 v45, v20, v51
	v_add_f16_e32 v54, v19, v22
	v_sub_f16_e32 v55, v23, v21
	v_add_f16_e32 v56, v44, v9
	v_sub_f16_e32 v57, v44, v9
	v_sub_f16_e32 v9, v9, v54
	;; [unrolled: 1-line block ×3, first 2 shown]
	v_add_f16_e32 v58, v55, v45
	v_sub_f16_e32 v59, v55, v45
	v_sub_f16_e32 v45, v45, v43
	v_add_f16_e32 v54, v54, v56
	v_sub_f16_e32 v55, v43, v55
	v_add_f16_e32 v43, v58, v43
	v_add_f16_e32 v15, v15, v54
	v_mul_f16_e32 v9, 0x3a52, v9
	v_mul_f16_e32 v56, 0x2b26, v44
	;; [unrolled: 1-line block ×4, first 2 shown]
	v_fma_f16 v54, v54, s8, v15
	v_fma_f16 v44, v44, s7, v9
	v_fma_f16 v56, v57, s9, -v56
	v_fma_f16 v9, v57, s14, -v9
	v_fma_f16 v57, v55, s15, v58
	v_fma_f16 v45, v45, s6, -v58
	v_fma_f16 v55, v55, s16, -v59
	v_add_f16_e32 v44, v44, v54
	v_add_f16_e32 v56, v56, v54
	;; [unrolled: 1-line block ×3, first 2 shown]
	v_fma_f16 v54, v43, s17, v57
	v_fma_f16 v45, v43, s17, v45
	v_fma_f16 v43, v43, s17, v55
	v_add_f16_e32 v55, v54, v44
	v_add_f16_e32 v57, v43, v9
	v_sub_f16_e32 v58, v56, v45
	v_add_f16_e32 v45, v45, v56
	v_sub_f16_e32 v9, v9, v43
	v_sub_f16_e32 v43, v44, v54
	v_add_f16_e32 v44, v29, v49
	v_add_f16_e32 v56, v30, v46
	v_sub_f16_e32 v59, v33, v47
	v_add_f16_e32 v60, v32, v37
	v_sub_f16_e32 v61, v38, v36
	;; [unrolled: 2-line block ×3, first 2 shown]
	v_sub_f16_e32 v63, v56, v44
	v_sub_f16_e32 v44, v44, v60
	;; [unrolled: 1-line block ×3, first 2 shown]
	v_add_f16_e32 v60, v60, v62
	v_add_f16_e32 v62, v61, v59
	v_sub_f16_e32 v64, v61, v59
	v_sub_f16_e32 v61, v54, v61
	;; [unrolled: 1-line block ×3, first 2 shown]
	v_add_f16_e32 v54, v62, v54
	v_mul_f16_e32 v44, 0x3a52, v44
	v_mul_f16_e32 v62, 0x2b26, v56
	v_fma_f16 v56, v56, s7, v44
	v_fma_f16 v62, v63, s9, -v62
	v_fma_f16 v44, v63, s14, -v44
	v_mul_f16_e32 v63, 0xb846, v64
	v_add_f16_e32 v14, v14, v60
	v_mul_f16_e32 v64, 0x3b00, v59
	v_fma_f16 v59, v59, s6, -v63
	v_fma_f16 v63, v61, s15, v63
	v_fma_f16 v60, v60, s8, v14
	v_fma_f16 v61, v61, s16, -v64
	v_add_f16_e32 v56, v56, v60
	v_add_f16_e32 v62, v62, v60
	;; [unrolled: 1-line block ×3, first 2 shown]
	v_fma_f16 v60, v54, s17, v63
	v_fma_f16 v59, v54, s17, v59
	;; [unrolled: 1-line block ×3, first 2 shown]
	v_add_f16_e32 v61, v60, v56
	v_sub_f16_e32 v56, v56, v60
	v_mov_b32_e32 v60, 1
	v_sub_f16_e32 v63, v62, v59
	v_add_f16_e32 v59, v59, v62
	v_add_f16_e32 v62, v54, v44
	v_sub_f16_e32 v54, v44, v54
	v_mul_u32_u24_e32 v44, 0x2f4, v67
	v_lshlrev_b32_sdwa v64, v60, v68 dst_sel:DWORD dst_unused:UNUSED_PAD src0_sel:DWORD src1_sel:BYTE_0
	v_add3_u32 v44, 0, v44, v64
	ds_write_b16 v44, v15
	ds_write_b16 v44, v55 offset:108
	ds_write_b16 v44, v57 offset:216
	;; [unrolled: 1-line block ×6, first 2 shown]
	v_mul_u32_u24_e32 v9, 0x2f4, v69
	v_lshlrev_b32_sdwa v15, v60, v70 dst_sel:DWORD dst_unused:UNUSED_PAD src0_sel:DWORD src1_sel:BYTE_0
	v_add3_u32 v45, 0, v9, v15
	v_lshl_add_u32 v43, v71, 1, 0
	ds_write_b16 v45, v14
	ds_write_b16 v45, v61 offset:108
	ds_write_b16 v45, v62 offset:216
	;; [unrolled: 1-line block ×6, first 2 shown]
	s_and_saveexec_b64 s[4:5], vcc
	s_cbranch_execz .LBB0_25
; %bb.24:
	v_add_f16_e32 v9, v6, v42
	v_add_f16_e32 v54, v27, v41
	;; [unrolled: 1-line block ×4, first 2 shown]
	v_sub_f16_e32 v15, v9, v14
	v_sub_f16_e32 v55, v14, v54
	v_add_f16_e32 v14, v14, v57
	v_sub_f16_e32 v57, v34, v24
	v_sub_f16_e32 v58, v26, v39
	;; [unrolled: 1-line block ×5, first 2 shown]
	v_add_f16_e32 v58, v58, v60
	v_sub_f16_e32 v9, v54, v9
	v_sub_f16_e32 v54, v60, v57
	v_mul_f16_e32 v15, 0x3a52, v15
	v_mul_f16_e32 v56, 0x2b26, v55
	v_add_f16_e32 v11, v11, v14
	v_mul_f16_e32 v61, 0xb846, v61
	v_add_f16_e32 v58, v58, v57
	v_mul_f16_e32 v57, 0x3b00, v54
	v_fma_f16 v55, v55, s7, v15
	v_fma_f16 v14, v14, s8, v11
	;; [unrolled: 1-line block ×3, first 2 shown]
	v_fma_f16 v15, v9, s14, -v15
	v_fma_f16 v57, v59, s16, -v57
	;; [unrolled: 1-line block ×4, first 2 shown]
	v_add_f16_e32 v55, v55, v14
	v_fma_f16 v62, v58, s17, v62
	v_add_f16_e32 v15, v15, v14
	v_fma_f16 v57, v58, s17, v57
	v_fma_f16 v54, v58, s17, v54
	v_add_f16_e32 v9, v9, v14
	v_sub_f16_e32 v63, v55, v62
	v_sub_f16_e32 v59, v15, v57
	v_add_f16_e32 v14, v54, v9
	v_sub_f16_e32 v9, v9, v54
	v_add_f16_e32 v15, v57, v15
	v_add_f16_e32 v54, v62, v55
	ds_write_b16 v43, v11 offset:3024
	ds_write_b16 v43, v54 offset:3132
	;; [unrolled: 1-line block ×7, first 2 shown]
.LBB0_25:
	s_or_b64 exec, exec, s[4:5]
	v_add_f16_e32 v9, v18, v53
	v_add_f16_e32 v14, v20, v51
	v_sub_f16_e32 v11, v16, v52
	v_sub_f16_e32 v15, v17, v50
	v_add_f16_e32 v16, v21, v23
	v_sub_f16_e32 v17, v22, v19
	v_add_f16_e32 v18, v14, v9
	v_sub_f16_e32 v19, v14, v9
	v_sub_f16_e32 v9, v9, v16
	;; [unrolled: 1-line block ×3, first 2 shown]
	v_add_f16_e32 v20, v17, v15
	v_sub_f16_e32 v21, v17, v15
	v_sub_f16_e32 v15, v15, v11
	v_add_f16_e32 v16, v16, v18
	v_sub_f16_e32 v17, v11, v17
	v_add_f16_e32 v11, v20, v11
	v_add_f16_e32 v50, v13, v16
	v_mul_f16_e32 v9, 0x3a52, v9
	v_mul_f16_e32 v13, 0x2b26, v14
	v_mul_f16_e32 v18, 0xb846, v21
	v_mul_f16_e32 v20, 0x3b00, v15
	v_fma_f16 v16, v16, s8, v50
	v_fma_f16 v14, v14, s7, v9
	v_fma_f16 v13, v19, s9, -v13
	v_fma_f16 v9, v19, s14, -v9
	v_fma_f16 v19, v17, s15, v18
	v_fma_f16 v15, v15, s6, -v18
	v_fma_f16 v17, v17, s16, -v20
	v_add_f16_e32 v14, v14, v16
	v_add_f16_e32 v13, v13, v16
	;; [unrolled: 1-line block ×3, first 2 shown]
	v_fma_f16 v16, v11, s17, v19
	v_fma_f16 v15, v11, s17, v15
	;; [unrolled: 1-line block ×3, first 2 shown]
	v_sub_f16_e32 v52, v9, v11
	v_add_f16_e32 v53, v15, v13
	v_sub_f16_e32 v54, v13, v15
	v_add_f16_e32 v55, v11, v9
	v_add_f16_e32 v9, v31, v48
	;; [unrolled: 1-line block ×3, first 2 shown]
	v_sub_f16_e32 v51, v14, v16
	v_add_f16_e32 v56, v16, v14
	v_sub_f16_e32 v11, v29, v49
	v_sub_f16_e32 v14, v30, v46
	v_add_f16_e32 v15, v36, v38
	v_sub_f16_e32 v16, v37, v32
	v_add_f16_e32 v17, v13, v9
	v_sub_f16_e32 v18, v13, v9
	v_sub_f16_e32 v9, v9, v15
	v_sub_f16_e32 v13, v15, v13
	v_add_f16_e32 v19, v16, v14
	v_sub_f16_e32 v20, v16, v14
	v_sub_f16_e32 v14, v14, v11
	v_add_f16_e32 v15, v15, v17
	v_sub_f16_e32 v16, v11, v16
	v_add_f16_e32 v11, v19, v11
	v_add_f16_e32 v30, v12, v15
	v_mul_f16_e32 v9, 0x3a52, v9
	v_mul_f16_e32 v12, 0x2b26, v13
	;; [unrolled: 1-line block ×4, first 2 shown]
	v_fma_f16 v15, v15, s8, v30
	v_fma_f16 v13, v13, s7, v9
	v_fma_f16 v12, v18, s9, -v12
	v_fma_f16 v9, v18, s14, -v9
	v_fma_f16 v18, v16, s15, v17
	v_fma_f16 v14, v14, s6, -v17
	v_fma_f16 v16, v16, s16, -v19
	v_add_f16_e32 v13, v13, v15
	v_add_f16_e32 v12, v12, v15
	;; [unrolled: 1-line block ×3, first 2 shown]
	v_fma_f16 v15, v11, s17, v18
	v_fma_f16 v14, v11, s17, v14
	;; [unrolled: 1-line block ×3, first 2 shown]
	v_sub_f16_e32 v31, v13, v15
	v_sub_f16_e32 v32, v9, v11
	v_add_f16_e32 v33, v14, v12
	v_sub_f16_e32 v36, v12, v14
	v_add_f16_e32 v37, v11, v9
	v_add_f16_e32 v38, v15, v13
	s_waitcnt lgkmcnt(0)
	s_barrier
	ds_read_u16 v9, v0
	ds_read_u16 v15, v0 offset:252
	ds_read_u16 v16, v0 offset:1008
	;; [unrolled: 1-line block ×14, first 2 shown]
	s_waitcnt lgkmcnt(0)
	s_barrier
	ds_write_b16 v44, v50
	ds_write_b16 v44, v51 offset:108
	ds_write_b16 v44, v52 offset:216
	;; [unrolled: 1-line block ×6, first 2 shown]
	ds_write_b16 v45, v30
	ds_write_b16 v45, v31 offset:108
	ds_write_b16 v45, v32 offset:216
	;; [unrolled: 1-line block ×6, first 2 shown]
	s_and_saveexec_b64 s[4:5], vcc
	s_cbranch_execz .LBB0_27
; %bb.26:
	v_add_f16_e32 v24, v34, v24
	v_add_f16_e32 v25, v35, v25
	;; [unrolled: 1-line block ×4, first 2 shown]
	v_sub_f16_e32 v31, v25, v24
	v_sub_f16_e32 v24, v24, v26
	;; [unrolled: 1-line block ×3, first 2 shown]
	v_mul_f16_e32 v24, 0x3a52, v24
	s_movk_i32 s6, 0x2b26
	v_sub_f16_e32 v27, v27, v41
	v_sub_f16_e32 v28, v40, v28
	v_add_f16_e32 v26, v26, v30
	v_mul_f16_e32 v30, 0x2b26, v25
	v_fma_f16 v25, v25, s6, v24
	s_movk_i32 s6, 0x39e0
	v_sub_f16_e32 v6, v6, v42
	v_add_f16_e32 v32, v28, v27
	v_sub_f16_e32 v33, v28, v27
	v_fma_f16 v30, v31, s6, -v30
	s_mov_b32 s6, 0xb9e0
	v_sub_f16_e32 v28, v6, v28
	v_sub_f16_e32 v27, v27, v6
	v_add_f16_e32 v6, v32, v6
	v_mul_f16_e32 v32, 0xb846, v33
	v_fma_f16 v24, v31, s6, -v24
	s_movk_i32 s6, 0x3574
	v_add_f16_e32 v10, v10, v26
	s_movk_i32 s7, 0x3b00
	v_mul_f16_e32 v33, 0x3b00, v27
	v_fma_f16 v31, v28, s6, v32
	s_mov_b32 s6, 0xb574
	v_fma_f16 v26, v26, s8, v10
	v_fma_f16 v27, v27, s7, -v32
	v_fma_f16 v28, v28, s6, -v33
	s_movk_i32 s6, 0x370e
	v_add_f16_e32 v25, v25, v26
	v_add_f16_e32 v30, v30, v26
	v_add_f16_e32 v24, v24, v26
	v_fma_f16 v26, v6, s6, v31
	v_fma_f16 v27, v6, s6, v27
	;; [unrolled: 1-line block ×3, first 2 shown]
	v_sub_f16_e32 v28, v25, v26
	v_sub_f16_e32 v31, v24, v6
	v_add_f16_e32 v32, v27, v30
	v_sub_f16_e32 v27, v30, v27
	v_add_f16_e32 v6, v6, v24
	v_add_f16_e32 v24, v26, v25
	ds_write_b16 v43, v10 offset:3024
	ds_write_b16 v43, v28 offset:3132
	;; [unrolled: 1-line block ×7, first 2 shown]
.LBB0_27:
	s_or_b64 exec, exec, s[4:5]
	s_waitcnt lgkmcnt(0)
	s_barrier
	s_and_saveexec_b64 s[4:5], s[0:1]
	s_cbranch_execz .LBB0_29
; %bb.28:
	v_lshlrev_b32_e32 v5, 2, v5
	v_mov_b32_e32 v6, 0
	v_lshlrev_b64 v[24:25], 2, v[5:6]
	v_mov_b32_e32 v10, s13
	v_add_co_u32_e32 v24, vcc, s12, v24
	v_addc_co_u32_e32 v25, vcc, v10, v25, vcc
	global_load_dwordx4 v[24:27], v[24:25], off offset:1504
	ds_read_u16 v34, v0 offset:2016
	v_mul_lo_u32 v28, s3, v3
	v_mul_lo_u32 v32, s2, v4
	v_mad_u64_u32 v[3:4], s[0:1], s2, v3, 0
	ds_read_u16 v35, v0 offset:1764
	ds_read_u16 v36, v0 offset:1512
	;; [unrolled: 1-line block ×13, first 2 shown]
	v_lshlrev_b32_e32 v5, 2, v8
	v_lshlrev_b64 v[30:31], 2, v[5:6]
	v_add3_u32 v4, v4, v32, v28
	s_movk_i32 s0, 0x3b9c
	s_mov_b32 s3, 0xbb9c
	s_movk_i32 s1, 0x38b4
	s_mov_b32 s4, 0xb8b4
	s_movk_i32 s2, 0x34f2
	v_add_co_u32_e32 v30, vcc, s12, v30
	v_addc_co_u32_e32 v31, vcc, v10, v31, vcc
	global_load_dwordx4 v[30:33], v[30:31], off offset:1504
	ds_read_u16 v0, v0
	v_lshlrev_b64 v[3:4], 2, v[3:4]
	s_waitcnt vmcnt(1)
	v_lshrrev_b32_e32 v5, 16, v24
	v_lshrrev_b32_e32 v8, 16, v25
	;; [unrolled: 1-line block ×4, first 2 shown]
	s_waitcnt lgkmcnt(11)
	v_mul_f16_e32 v49, v24, v37
	v_mul_f16_e32 v50, v25, v34
	s_waitcnt lgkmcnt(6)
	v_mul_f16_e32 v51, v27, v42
	s_waitcnt lgkmcnt(3)
	v_mul_f16_e32 v52, v26, v45
	v_fma_f16 v49, v21, v5, v49
	v_fma_f16 v50, v29, v8, v50
	;; [unrolled: 1-line block ×4, first 2 shown]
	v_mul_f16_e32 v8, v8, v34
	v_mul_f16_e32 v28, v28, v45
	;; [unrolled: 1-line block ×4, first 2 shown]
	v_sub_f16_e32 v37, v49, v50
	v_sub_f16_e32 v42, v51, v52
	v_fma_f16 v8, v29, v25, -v8
	v_fma_f16 v25, v23, v26, -v28
	;; [unrolled: 1-line block ×4, first 2 shown]
	v_sub_f16_e32 v26, v50, v49
	v_sub_f16_e32 v27, v52, v51
	v_add_f16_e32 v28, v49, v51
	v_add_f16_e32 v29, v37, v42
	v_sub_f16_e32 v34, v8, v25
	v_sub_f16_e32 v42, v5, v8
	;; [unrolled: 1-line block ×3, first 2 shown]
	v_add_f16_e32 v48, v8, v25
	v_add_f16_e32 v26, v26, v27
	v_fma_f16 v27, v28, -0.5, v40
	v_add_f16_e32 v21, v50, v52
	v_sub_f16_e32 v37, v5, v24
	v_add_f16_e32 v54, v5, v24
	v_add_f16_e32 v42, v42, v45
	v_fma_f16 v45, v48, -0.5, v20
	v_fma_f16 v48, v34, s3, v27
	v_fma_f16 v27, v34, s0, v27
	v_sub_f16_e32 v23, v50, v52
	v_fma_f16 v21, v21, -0.5, v40
	v_fma_f16 v48, v37, s1, v48
	v_fma_f16 v54, v54, -0.5, v20
	v_fma_f16 v27, v37, s4, v27
	v_sub_f16_e32 v22, v49, v51
	v_sub_f16_e32 v28, v8, v5
	;; [unrolled: 1-line block ×3, first 2 shown]
	v_fma_f16 v55, v37, s0, v21
	v_fma_f16 v48, v26, s2, v48
	;; [unrolled: 1-line block ×6, first 2 shown]
	v_add_f16_e32 v28, v28, v53
	v_fma_f16 v56, v22, s4, v56
	v_fma_f16 v27, v22, s1, v27
	;; [unrolled: 1-line block ×11, first 2 shown]
	v_add_f16_e32 v21, v49, v40
	v_add_f16_e32 v21, v50, v21
	;; [unrolled: 1-line block ×5, first 2 shown]
	v_lshlrev_b32_e32 v5, 2, v7
	v_add_f16_e32 v34, v51, v21
	v_lshlrev_b64 v[20:21], 2, v[5:6]
	v_fma_f16 v55, v22, s3, v45
	v_add_co_u32_e32 v20, vcc, s12, v20
	v_addc_co_u32_e32 v21, vcc, v10, v21, vcc
	v_fma_f16 v55, v23, s4, v55
	global_load_dwordx4 v[20:23], v[20:21], off offset:1504
	v_add_f16_e32 v5, v8, v25
	v_add_f16_e32 v8, v24, v5
	s_waitcnt vmcnt(1)
	v_lshrrev_b32_e32 v5, 16, v30
	v_lshrrev_b32_e32 v10, 16, v31
	;; [unrolled: 1-line block ×4, first 2 shown]
	v_mul_f16_e32 v37, v30, v38
	v_mul_f16_e32 v40, v31, v35
	;; [unrolled: 1-line block ×3, first 2 shown]
	s_waitcnt lgkmcnt(2)
	v_mul_f16_e32 v49, v32, v46
	v_fma_f16 v37, v16, v5, v37
	v_fma_f16 v40, v18, v10, v40
	;; [unrolled: 1-line block ×4, first 2 shown]
	v_mul_f16_e32 v10, v10, v35
	v_mul_f16_e32 v5, v5, v38
	v_fma_f16 v10, v18, v31, -v10
	v_mul_f16_e32 v18, v24, v46
	v_fma_f16 v5, v16, v30, -v5
	v_mul_f16_e32 v16, v25, v43
	v_sub_f16_e32 v38, v40, v37
	v_sub_f16_e32 v43, v49, v45
	v_fma_f16 v17, v17, v32, -v18
	v_fma_f16 v16, v19, v33, -v16
	v_add_f16_e32 v38, v38, v43
	v_add_f16_e32 v43, v37, v45
	v_fma_f16 v55, v42, s2, v55
	v_sub_f16_e32 v42, v37, v40
	v_sub_f16_e32 v50, v45, v49
	;; [unrolled: 1-line block ×3, first 2 shown]
	v_add_f16_e32 v24, v40, v49
	v_sub_f16_e32 v30, v5, v10
	v_sub_f16_e32 v31, v16, v17
	v_fma_f16 v43, v43, -0.5, v41
	v_add_f16_e32 v42, v42, v50
	v_sub_f16_e32 v19, v5, v16
	v_fma_f16 v24, v24, -0.5, v41
	v_add_f16_e32 v30, v30, v31
	v_add_f16_e32 v31, v10, v17
	v_fma_f16 v46, v18, s3, v43
	v_sub_f16_e32 v50, v10, v5
	v_sub_f16_e32 v51, v17, v16
	v_fma_f16 v43, v18, s0, v43
	v_fma_f16 v25, v19, s0, v24
	v_fma_f16 v31, v31, -0.5, v15
	v_sub_f16_e32 v32, v37, v45
	v_fma_f16 v46, v19, s1, v46
	v_add_f16_e32 v50, v50, v51
	v_add_f16_e32 v51, v5, v16
	v_fma_f16 v43, v19, s4, v43
	v_fma_f16 v19, v19, s3, v24
	v_add_f16_e32 v5, v15, v5
	v_fma_f16 v25, v18, s1, v25
	v_fma_f16 v33, v32, s3, v31
	v_sub_f16_e32 v35, v40, v49
	v_fma_f16 v18, v18, s4, v19
	v_fma_f16 v19, v32, s0, v31
	v_add_f16_e32 v5, v5, v10
	v_fma_f16 v33, v35, s4, v33
	v_fma_f16 v51, v51, -0.5, v15
	v_fma_f16 v19, v35, s1, v19
	v_add_f16_e32 v5, v5, v17
	v_fma_f16 v33, v30, s2, v33
	v_fma_f16 v46, v38, s2, v46
	;; [unrolled: 1-line block ×6, first 2 shown]
	v_add_f16_e32 v10, v16, v5
	v_fma_f16 v52, v32, s4, v52
	v_fma_f16 v43, v32, s1, v43
	v_add_f16_e32 v24, v37, v41
	v_add_f16_e32 v24, v40, v24
	v_fma_f16 v25, v42, s2, v25
	v_fma_f16 v18, v42, s2, v18
	v_add_f16_e32 v24, v49, v24
	v_add_f16_e32 v24, v45, v24
	v_add_co_u32_e32 v3, vcc, s10, v3
	s_waitcnt vmcnt(0)
	v_lshrrev_b32_e32 v5, 16, v21
	v_mul_f16_e32 v30, v21, v36
	v_lshrrev_b32_e32 v15, 16, v22
	v_lshrrev_b32_e32 v16, 16, v23
	v_mul_f16_sdwa v17, v11, v20 dst_sel:DWORD dst_unused:UNUSED_PAD src0_sel:DWORD src1_sel:WORD_1
	v_fma_f16 v30, v12, v5, v30
	v_mul_f16_e32 v32, v23, v44
	s_waitcnt lgkmcnt(1)
	v_mul_f16_e32 v35, v22, v47
	v_mul_f16_e32 v5, v5, v36
	v_fma_f16 v17, v39, v20, v17
	v_fma_f16 v32, v13, v16, v32
	;; [unrolled: 1-line block ×3, first 2 shown]
	v_fma_f16 v5, v12, v21, -v5
	v_mul_f16_e32 v12, v15, v47
	v_mul_f16_sdwa v15, v39, v20 dst_sel:DWORD dst_unused:UNUSED_PAD src0_sel:DWORD src1_sel:WORD_1
	v_fma_f16 v11, v11, v20, -v15
	v_mul_f16_e32 v15, v16, v44
	v_sub_f16_e32 v39, v30, v17
	v_sub_f16_e32 v40, v35, v32
	v_fma_f16 v12, v14, v22, -v12
	v_fma_f16 v13, v13, v23, -v15
	v_add_f16_e32 v16, v30, v35
	v_add_f16_e32 v39, v39, v40
	;; [unrolled: 1-line block ×3, first 2 shown]
	v_sub_f16_e32 v14, v5, v12
	s_waitcnt lgkmcnt(0)
	v_fma_f16 v16, v16, -0.5, v0
	v_sub_f16_e32 v21, v11, v5
	v_sub_f16_e32 v22, v13, v12
	v_fma_f16 v40, v40, -0.5, v0
	v_sub_f16_e32 v42, v5, v11
	v_sub_f16_e32 v44, v12, v13
	v_add_f16_e32 v0, v17, v0
	v_sub_f16_e32 v31, v17, v30
	v_sub_f16_e32 v37, v32, v35
	v_sub_f16_e32 v15, v11, v13
	v_add_f16_e32 v21, v21, v22
	v_add_f16_e32 v22, v5, v12
	v_fma_f16 v41, v14, s3, v40
	v_add_f16_e32 v42, v42, v44
	v_add_f16_e32 v44, v11, v13
	v_fma_f16 v40, v14, s0, v40
	;; [unrolled: 3-line block ×3, first 2 shown]
	v_fma_f16 v22, v22, -0.5, v9
	v_sub_f16_e32 v23, v17, v32
	v_sub_f16_e32 v37, v30, v35
	v_fma_f16 v41, v15, s1, v41
	v_fma_f16 v44, v44, -0.5, v9
	v_fma_f16 v40, v15, s4, v40
	v_fma_f16 v15, v15, s3, v16
	v_add_f16_e32 v0, v35, v0
	v_fma_f16 v20, v14, s1, v20
	v_fma_f16 v45, v37, s0, v44
	;; [unrolled: 1-line block ×4, first 2 shown]
	v_add_f16_e32 v16, v32, v0
	v_add_f16_e32 v0, v9, v11
	v_lshrrev_b32_e32 v9, 1, v7
	s_mov_b32 s0, 0xad602b59
	v_mul_hi_u32 v9, v9, s0
	v_add_f16_e32 v0, v0, v5
	v_add_f16_e32 v0, v0, v12
	;; [unrolled: 1-line block ×3, first 2 shown]
	v_lshrrev_b32_e32 v0, 7, v9
	v_mul_u32_u24_e32 v0, 0x17a, v0
	v_sub_u32_e32 v9, v7, v0
	v_mov_b32_e32 v0, s11
	v_addc_co_u32_e32 v4, vcc, v0, v4, vcc
	v_lshlrev_b64 v[0:1], 2, v[1:2]
	v_fma_f16 v41, v39, s2, v41
	v_add_co_u32_e32 v2, vcc, v3, v0
	v_addc_co_u32_e32 v3, vcc, v4, v1, vcc
	v_lshlrev_b32_e32 v0, 2, v9
	v_fma_f16 v39, v39, s2, v40
	v_fma_f16 v40, v37, s3, v44
	;; [unrolled: 1-line block ×3, first 2 shown]
	v_add_co_u32_e32 v0, vcc, v2, v0
	v_fma_f16 v40, v23, s1, v40
	v_fma_f16 v14, v31, s2, v14
	;; [unrolled: 1-line block ×3, first 2 shown]
	v_addc_co_u32_e32 v1, vcc, 0, v3, vcc
	v_pack_b32_f16 v4, v5, v16
	v_add_u32_e32 v5, 0x7e, v7
	v_fma_f16 v40, v42, s2, v40
	global_store_dword v[0:1], v4, off
	v_pack_b32_f16 v4, v15, v14
	v_lshrrev_b32_e32 v9, 1, v5
	v_fma_f16 v36, v23, s3, v22
	v_fma_f16 v45, v23, s4, v45
	global_store_dword v[0:1], v4, off offset:1512
	v_pack_b32_f16 v4, v40, v39
	s_movk_i32 s1, 0x1000
	v_mul_hi_u32 v9, v9, s0
	v_fma_f16 v36, v37, s4, v36
	v_fma_f16 v45, v42, s2, v45
	global_store_dword v[0:1], v4, off offset:3024
	v_add_co_u32_e32 v0, vcc, s1, v0
	v_fma_f16 v20, v31, s2, v20
	v_fma_f16 v36, v21, s2, v36
	v_pack_b32_f16 v4, v45, v41
	v_addc_co_u32_e32 v1, vcc, 0, v1, vcc
	global_store_dword v[0:1], v4, off offset:440
	v_pack_b32_f16 v4, v36, v20
	global_store_dword v[0:1], v4, off offset:1952
	v_lshrrev_b32_e32 v0, 7, v9
	v_mul_u32_u24_e32 v1, 0x17a, v0
	v_sub_u32_e32 v1, v5, v1
	s_movk_i32 s1, 0x762
	v_mad_u32_u24 v5, v0, s1, v1
	v_lshlrev_b64 v[0:1], 2, v[5:6]
	v_pack_b32_f16 v4, v10, v24
	v_add_co_u32_e32 v0, vcc, v2, v0
	v_addc_co_u32_e32 v1, vcc, v3, v1, vcc
	global_store_dword v[0:1], v4, off
	v_add_u32_e32 v0, 0x17a, v5
	v_mov_b32_e32 v1, v6
	v_lshlrev_b64 v[0:1], 2, v[0:1]
	v_pack_b32_f16 v4, v19, v18
	v_add_co_u32_e32 v0, vcc, v2, v0
	v_addc_co_u32_e32 v1, vcc, v3, v1, vcc
	global_store_dword v[0:1], v4, off
	v_add_u32_e32 v0, 0x2f4, v5
	v_mov_b32_e32 v1, v6
	v_lshlrev_b64 v[0:1], 2, v[0:1]
	v_fma_f16 v43, v50, s2, v43
	v_add_co_u32_e32 v0, vcc, v2, v0
	v_addc_co_u32_e32 v1, vcc, v3, v1, vcc
	v_pack_b32_f16 v4, v43, v38
	global_store_dword v[0:1], v4, off
	v_add_u32_e32 v0, 0x46e, v5
	v_mov_b32_e32 v1, v6
	v_lshlrev_b64 v[0:1], 2, v[0:1]
	v_fma_f16 v52, v50, s2, v52
	v_add_co_u32_e32 v0, vcc, v2, v0
	v_addc_co_u32_e32 v1, vcc, v3, v1, vcc
	v_pack_b32_f16 v4, v52, v46
	global_store_dword v[0:1], v4, off
	v_add_u32_e32 v5, 0x5e8, v5
	v_add_u32_e32 v4, 0xfc, v7
	v_lshlrev_b64 v[0:1], 2, v[5:6]
	v_lshrrev_b32_e32 v5, 1, v4
	v_mul_hi_u32 v5, v5, s0
	v_add_co_u32_e32 v0, vcc, v2, v0
	v_addc_co_u32_e32 v1, vcc, v3, v1, vcc
	v_pack_b32_f16 v7, v33, v25
	global_store_dword v[0:1], v7, off
	v_lshrrev_b32_e32 v0, 7, v5
	v_mul_u32_u24_e32 v1, 0x17a, v0
	v_sub_u32_e32 v1, v4, v1
	v_mad_u32_u24 v5, v0, s1, v1
	v_lshlrev_b64 v[0:1], 2, v[5:6]
	v_pack_b32_f16 v4, v8, v34
	v_add_co_u32_e32 v0, vcc, v2, v0
	v_addc_co_u32_e32 v1, vcc, v3, v1, vcc
	global_store_dword v[0:1], v4, off
	v_add_u32_e32 v0, 0x17a, v5
	v_mov_b32_e32 v1, v6
	v_lshlrev_b64 v[0:1], 2, v[0:1]
	v_pack_b32_f16 v4, v29, v28
	v_add_co_u32_e32 v0, vcc, v2, v0
	v_addc_co_u32_e32 v1, vcc, v3, v1, vcc
	global_store_dword v[0:1], v4, off
	v_add_u32_e32 v0, 0x2f4, v5
	v_mov_b32_e32 v1, v6
	;; [unrolled: 7-line block ×3, first 2 shown]
	v_lshlrev_b64 v[0:1], 2, v[0:1]
	v_pack_b32_f16 v4, v56, v48
	v_add_co_u32_e32 v0, vcc, v2, v0
	v_addc_co_u32_e32 v1, vcc, v3, v1, vcc
	v_add_u32_e32 v5, 0x5e8, v5
	global_store_dword v[0:1], v4, off
	v_lshlrev_b64 v[0:1], 2, v[5:6]
	v_add_co_u32_e32 v0, vcc, v2, v0
	v_addc_co_u32_e32 v1, vcc, v3, v1, vcc
	v_pack_b32_f16 v2, v55, v53
	global_store_dword v[0:1], v2, off
.LBB0_29:
	s_endpgm
	.section	.rodata,"a",@progbits
	.p2align	6, 0x0
	.amdhsa_kernel fft_rtc_fwd_len1890_factors_2_3_3_3_7_5_wgs_126_tpt_126_halfLds_half_op_CI_CI_unitstride_sbrr_dirReg
		.amdhsa_group_segment_fixed_size 0
		.amdhsa_private_segment_fixed_size 0
		.amdhsa_kernarg_size 104
		.amdhsa_user_sgpr_count 6
		.amdhsa_user_sgpr_private_segment_buffer 1
		.amdhsa_user_sgpr_dispatch_ptr 0
		.amdhsa_user_sgpr_queue_ptr 0
		.amdhsa_user_sgpr_kernarg_segment_ptr 1
		.amdhsa_user_sgpr_dispatch_id 0
		.amdhsa_user_sgpr_flat_scratch_init 0
		.amdhsa_user_sgpr_private_segment_size 0
		.amdhsa_uses_dynamic_stack 0
		.amdhsa_system_sgpr_private_segment_wavefront_offset 0
		.amdhsa_system_sgpr_workgroup_id_x 1
		.amdhsa_system_sgpr_workgroup_id_y 0
		.amdhsa_system_sgpr_workgroup_id_z 0
		.amdhsa_system_sgpr_workgroup_info 0
		.amdhsa_system_vgpr_workitem_id 0
		.amdhsa_next_free_vgpr 73
		.amdhsa_next_free_sgpr 28
		.amdhsa_reserve_vcc 1
		.amdhsa_reserve_flat_scratch 0
		.amdhsa_float_round_mode_32 0
		.amdhsa_float_round_mode_16_64 0
		.amdhsa_float_denorm_mode_32 3
		.amdhsa_float_denorm_mode_16_64 3
		.amdhsa_dx10_clamp 1
		.amdhsa_ieee_mode 1
		.amdhsa_fp16_overflow 0
		.amdhsa_exception_fp_ieee_invalid_op 0
		.amdhsa_exception_fp_denorm_src 0
		.amdhsa_exception_fp_ieee_div_zero 0
		.amdhsa_exception_fp_ieee_overflow 0
		.amdhsa_exception_fp_ieee_underflow 0
		.amdhsa_exception_fp_ieee_inexact 0
		.amdhsa_exception_int_div_zero 0
	.end_amdhsa_kernel
	.text
.Lfunc_end0:
	.size	fft_rtc_fwd_len1890_factors_2_3_3_3_7_5_wgs_126_tpt_126_halfLds_half_op_CI_CI_unitstride_sbrr_dirReg, .Lfunc_end0-fft_rtc_fwd_len1890_factors_2_3_3_3_7_5_wgs_126_tpt_126_halfLds_half_op_CI_CI_unitstride_sbrr_dirReg
                                        ; -- End function
	.section	.AMDGPU.csdata,"",@progbits
; Kernel info:
; codeLenInByte = 12088
; NumSgprs: 32
; NumVgprs: 73
; ScratchSize: 0
; MemoryBound: 0
; FloatMode: 240
; IeeeMode: 1
; LDSByteSize: 0 bytes/workgroup (compile time only)
; SGPRBlocks: 3
; VGPRBlocks: 18
; NumSGPRsForWavesPerEU: 32
; NumVGPRsForWavesPerEU: 73
; Occupancy: 3
; WaveLimiterHint : 1
; COMPUTE_PGM_RSRC2:SCRATCH_EN: 0
; COMPUTE_PGM_RSRC2:USER_SGPR: 6
; COMPUTE_PGM_RSRC2:TRAP_HANDLER: 0
; COMPUTE_PGM_RSRC2:TGID_X_EN: 1
; COMPUTE_PGM_RSRC2:TGID_Y_EN: 0
; COMPUTE_PGM_RSRC2:TGID_Z_EN: 0
; COMPUTE_PGM_RSRC2:TIDIG_COMP_CNT: 0
	.type	__hip_cuid_41a860fbfe5ead8f,@object ; @__hip_cuid_41a860fbfe5ead8f
	.section	.bss,"aw",@nobits
	.globl	__hip_cuid_41a860fbfe5ead8f
__hip_cuid_41a860fbfe5ead8f:
	.byte	0                               ; 0x0
	.size	__hip_cuid_41a860fbfe5ead8f, 1

	.ident	"AMD clang version 19.0.0git (https://github.com/RadeonOpenCompute/llvm-project roc-6.4.0 25133 c7fe45cf4b819c5991fe208aaa96edf142730f1d)"
	.section	".note.GNU-stack","",@progbits
	.addrsig
	.addrsig_sym __hip_cuid_41a860fbfe5ead8f
	.amdgpu_metadata
---
amdhsa.kernels:
  - .args:
      - .actual_access:  read_only
        .address_space:  global
        .offset:         0
        .size:           8
        .value_kind:     global_buffer
      - .offset:         8
        .size:           8
        .value_kind:     by_value
      - .actual_access:  read_only
        .address_space:  global
        .offset:         16
        .size:           8
        .value_kind:     global_buffer
      - .actual_access:  read_only
        .address_space:  global
        .offset:         24
        .size:           8
        .value_kind:     global_buffer
      - .actual_access:  read_only
        .address_space:  global
        .offset:         32
        .size:           8
        .value_kind:     global_buffer
      - .offset:         40
        .size:           8
        .value_kind:     by_value
      - .actual_access:  read_only
        .address_space:  global
        .offset:         48
        .size:           8
        .value_kind:     global_buffer
      - .actual_access:  read_only
        .address_space:  global
        .offset:         56
        .size:           8
        .value_kind:     global_buffer
      - .offset:         64
        .size:           4
        .value_kind:     by_value
      - .actual_access:  read_only
        .address_space:  global
        .offset:         72
        .size:           8
        .value_kind:     global_buffer
      - .actual_access:  read_only
        .address_space:  global
        .offset:         80
        .size:           8
        .value_kind:     global_buffer
      - .actual_access:  read_only
        .address_space:  global
        .offset:         88
        .size:           8
        .value_kind:     global_buffer
      - .actual_access:  write_only
        .address_space:  global
        .offset:         96
        .size:           8
        .value_kind:     global_buffer
    .group_segment_fixed_size: 0
    .kernarg_segment_align: 8
    .kernarg_segment_size: 104
    .language:       OpenCL C
    .language_version:
      - 2
      - 0
    .max_flat_workgroup_size: 126
    .name:           fft_rtc_fwd_len1890_factors_2_3_3_3_7_5_wgs_126_tpt_126_halfLds_half_op_CI_CI_unitstride_sbrr_dirReg
    .private_segment_fixed_size: 0
    .sgpr_count:     32
    .sgpr_spill_count: 0
    .symbol:         fft_rtc_fwd_len1890_factors_2_3_3_3_7_5_wgs_126_tpt_126_halfLds_half_op_CI_CI_unitstride_sbrr_dirReg.kd
    .uniform_work_group_size: 1
    .uses_dynamic_stack: false
    .vgpr_count:     73
    .vgpr_spill_count: 0
    .wavefront_size: 64
amdhsa.target:   amdgcn-amd-amdhsa--gfx906
amdhsa.version:
  - 1
  - 2
...

	.end_amdgpu_metadata
